;; amdgpu-corpus repo=ROCm/rocFFT kind=compiled arch=gfx1201 opt=O3
	.text
	.amdgcn_target "amdgcn-amd-amdhsa--gfx1201"
	.amdhsa_code_object_version 6
	.protected	fft_rtc_back_len1904_factors_17_2_2_7_4_wgs_119_tpt_119_halfLds_dp_op_CI_CI_unitstride_sbrr_R2C_dirReg ; -- Begin function fft_rtc_back_len1904_factors_17_2_2_7_4_wgs_119_tpt_119_halfLds_dp_op_CI_CI_unitstride_sbrr_R2C_dirReg
	.globl	fft_rtc_back_len1904_factors_17_2_2_7_4_wgs_119_tpt_119_halfLds_dp_op_CI_CI_unitstride_sbrr_R2C_dirReg
	.p2align	8
	.type	fft_rtc_back_len1904_factors_17_2_2_7_4_wgs_119_tpt_119_halfLds_dp_op_CI_CI_unitstride_sbrr_R2C_dirReg,@function
fft_rtc_back_len1904_factors_17_2_2_7_4_wgs_119_tpt_119_halfLds_dp_op_CI_CI_unitstride_sbrr_R2C_dirReg: ; @fft_rtc_back_len1904_factors_17_2_2_7_4_wgs_119_tpt_119_halfLds_dp_op_CI_CI_unitstride_sbrr_R2C_dirReg
; %bb.0:
	s_clause 0x2
	s_load_b128 s[8:11], s[0:1], 0x0
	s_load_b128 s[4:7], s[0:1], 0x58
	;; [unrolled: 1-line block ×3, first 2 shown]
	v_mul_u32_u24_e32 v1, 0x227, v0
	v_mov_b32_e32 v3, 0
	s_delay_alu instid0(VALU_DEP_2) | instskip(NEXT) | instid1(VALU_DEP_1)
	v_lshrrev_b32_e32 v1, 16, v1
	v_add_nc_u32_e32 v5, ttmp9, v1
	v_mov_b32_e32 v1, 0
	v_mov_b32_e32 v2, 0
	;; [unrolled: 1-line block ×3, first 2 shown]
	s_wait_kmcnt 0x0
	v_cmp_lt_u64_e64 s2, s[10:11], 2
	s_delay_alu instid0(VALU_DEP_1)
	s_and_b32 vcc_lo, exec_lo, s2
	s_cbranch_vccnz .LBB0_8
; %bb.1:
	s_load_b64 s[2:3], s[0:1], 0x10
	v_mov_b32_e32 v1, 0
	v_mov_b32_e32 v2, 0
	s_add_nc_u64 s[16:17], s[14:15], 8
	s_add_nc_u64 s[18:19], s[12:13], 8
	s_mov_b64 s[20:21], 1
	s_delay_alu instid0(VALU_DEP_1)
	v_dual_mov_b32 v85, v2 :: v_dual_mov_b32 v84, v1
	s_wait_kmcnt 0x0
	s_add_nc_u64 s[22:23], s[2:3], 8
	s_mov_b32 s3, 0
.LBB0_2:                                ; =>This Inner Loop Header: Depth=1
	s_load_b64 s[24:25], s[22:23], 0x0
                                        ; implicit-def: $vgpr88_vgpr89
	s_mov_b32 s2, exec_lo
	s_wait_kmcnt 0x0
	v_or_b32_e32 v4, s25, v6
	s_delay_alu instid0(VALU_DEP_1)
	v_cmpx_ne_u64_e32 0, v[3:4]
	s_wait_alu 0xfffe
	s_xor_b32 s26, exec_lo, s2
	s_cbranch_execz .LBB0_4
; %bb.3:                                ;   in Loop: Header=BB0_2 Depth=1
	s_cvt_f32_u32 s2, s24
	s_cvt_f32_u32 s27, s25
	s_sub_nc_u64 s[30:31], 0, s[24:25]
	s_wait_alu 0xfffe
	s_delay_alu instid0(SALU_CYCLE_1) | instskip(SKIP_1) | instid1(SALU_CYCLE_2)
	s_fmamk_f32 s2, s27, 0x4f800000, s2
	s_wait_alu 0xfffe
	v_s_rcp_f32 s2, s2
	s_delay_alu instid0(TRANS32_DEP_1) | instskip(SKIP_1) | instid1(SALU_CYCLE_2)
	s_mul_f32 s2, s2, 0x5f7ffffc
	s_wait_alu 0xfffe
	s_mul_f32 s27, s2, 0x2f800000
	s_wait_alu 0xfffe
	s_delay_alu instid0(SALU_CYCLE_2) | instskip(SKIP_1) | instid1(SALU_CYCLE_2)
	s_trunc_f32 s27, s27
	s_wait_alu 0xfffe
	s_fmamk_f32 s2, s27, 0xcf800000, s2
	s_cvt_u32_f32 s29, s27
	s_wait_alu 0xfffe
	s_delay_alu instid0(SALU_CYCLE_1) | instskip(SKIP_1) | instid1(SALU_CYCLE_2)
	s_cvt_u32_f32 s28, s2
	s_wait_alu 0xfffe
	s_mul_u64 s[34:35], s[30:31], s[28:29]
	s_wait_alu 0xfffe
	s_mul_hi_u32 s37, s28, s35
	s_mul_i32 s36, s28, s35
	s_mul_hi_u32 s2, s28, s34
	s_mul_i32 s33, s29, s34
	s_wait_alu 0xfffe
	s_add_nc_u64 s[36:37], s[2:3], s[36:37]
	s_mul_hi_u32 s27, s29, s34
	s_mul_hi_u32 s38, s29, s35
	s_add_co_u32 s2, s36, s33
	s_wait_alu 0xfffe
	s_add_co_ci_u32 s2, s37, s27
	s_mul_i32 s34, s29, s35
	s_add_co_ci_u32 s35, s38, 0
	s_wait_alu 0xfffe
	s_add_nc_u64 s[34:35], s[2:3], s[34:35]
	s_wait_alu 0xfffe
	v_add_co_u32 v4, s2, s28, s34
	s_delay_alu instid0(VALU_DEP_1) | instskip(SKIP_1) | instid1(VALU_DEP_1)
	s_cmp_lg_u32 s2, 0
	s_add_co_ci_u32 s29, s29, s35
	v_readfirstlane_b32 s28, v4
	s_wait_alu 0xfffe
	s_delay_alu instid0(VALU_DEP_1)
	s_mul_u64 s[30:31], s[30:31], s[28:29]
	s_wait_alu 0xfffe
	s_mul_hi_u32 s35, s28, s31
	s_mul_i32 s34, s28, s31
	s_mul_hi_u32 s2, s28, s30
	s_mul_i32 s33, s29, s30
	s_wait_alu 0xfffe
	s_add_nc_u64 s[34:35], s[2:3], s[34:35]
	s_mul_hi_u32 s27, s29, s30
	s_mul_hi_u32 s28, s29, s31
	s_wait_alu 0xfffe
	s_add_co_u32 s2, s34, s33
	s_add_co_ci_u32 s2, s35, s27
	s_mul_i32 s30, s29, s31
	s_add_co_ci_u32 s31, s28, 0
	s_wait_alu 0xfffe
	s_add_nc_u64 s[30:31], s[2:3], s[30:31]
	s_wait_alu 0xfffe
	v_add_co_u32 v4, s2, v4, s30
	s_delay_alu instid0(VALU_DEP_1) | instskip(SKIP_1) | instid1(VALU_DEP_1)
	s_cmp_lg_u32 s2, 0
	s_add_co_ci_u32 s2, s29, s31
	v_mul_hi_u32 v13, v5, v4
	s_wait_alu 0xfffe
	v_mad_co_u64_u32 v[7:8], null, v5, s2, 0
	v_mad_co_u64_u32 v[9:10], null, v6, v4, 0
	;; [unrolled: 1-line block ×3, first 2 shown]
	s_delay_alu instid0(VALU_DEP_3) | instskip(SKIP_1) | instid1(VALU_DEP_4)
	v_add_co_u32 v4, vcc_lo, v13, v7
	s_wait_alu 0xfffd
	v_add_co_ci_u32_e32 v7, vcc_lo, 0, v8, vcc_lo
	s_delay_alu instid0(VALU_DEP_2) | instskip(SKIP_1) | instid1(VALU_DEP_2)
	v_add_co_u32 v4, vcc_lo, v4, v9
	s_wait_alu 0xfffd
	v_add_co_ci_u32_e32 v4, vcc_lo, v7, v10, vcc_lo
	s_wait_alu 0xfffd
	v_add_co_ci_u32_e32 v7, vcc_lo, 0, v12, vcc_lo
	s_delay_alu instid0(VALU_DEP_2) | instskip(SKIP_1) | instid1(VALU_DEP_2)
	v_add_co_u32 v4, vcc_lo, v4, v11
	s_wait_alu 0xfffd
	v_add_co_ci_u32_e32 v9, vcc_lo, 0, v7, vcc_lo
	s_delay_alu instid0(VALU_DEP_2) | instskip(SKIP_1) | instid1(VALU_DEP_3)
	v_mul_lo_u32 v10, s25, v4
	v_mad_co_u64_u32 v[7:8], null, s24, v4, 0
	v_mul_lo_u32 v11, s24, v9
	s_delay_alu instid0(VALU_DEP_2) | instskip(NEXT) | instid1(VALU_DEP_2)
	v_sub_co_u32 v7, vcc_lo, v5, v7
	v_add3_u32 v8, v8, v11, v10
	s_delay_alu instid0(VALU_DEP_1) | instskip(SKIP_1) | instid1(VALU_DEP_1)
	v_sub_nc_u32_e32 v10, v6, v8
	s_wait_alu 0xfffd
	v_subrev_co_ci_u32_e64 v10, s2, s25, v10, vcc_lo
	v_add_co_u32 v11, s2, v4, 2
	s_wait_alu 0xf1ff
	v_add_co_ci_u32_e64 v12, s2, 0, v9, s2
	v_sub_co_u32 v13, s2, v7, s24
	v_sub_co_ci_u32_e32 v8, vcc_lo, v6, v8, vcc_lo
	s_wait_alu 0xf1ff
	v_subrev_co_ci_u32_e64 v10, s2, 0, v10, s2
	s_delay_alu instid0(VALU_DEP_3) | instskip(NEXT) | instid1(VALU_DEP_3)
	v_cmp_le_u32_e32 vcc_lo, s24, v13
	v_cmp_eq_u32_e64 s2, s25, v8
	s_wait_alu 0xfffd
	v_cndmask_b32_e64 v13, 0, -1, vcc_lo
	v_cmp_le_u32_e32 vcc_lo, s25, v10
	s_wait_alu 0xfffd
	v_cndmask_b32_e64 v14, 0, -1, vcc_lo
	v_cmp_le_u32_e32 vcc_lo, s24, v7
	;; [unrolled: 3-line block ×3, first 2 shown]
	s_wait_alu 0xfffd
	v_cndmask_b32_e64 v15, 0, -1, vcc_lo
	v_cmp_eq_u32_e32 vcc_lo, s25, v10
	s_wait_alu 0xf1ff
	s_delay_alu instid0(VALU_DEP_2)
	v_cndmask_b32_e64 v7, v15, v7, s2
	s_wait_alu 0xfffd
	v_cndmask_b32_e32 v10, v14, v13, vcc_lo
	v_add_co_u32 v13, vcc_lo, v4, 1
	s_wait_alu 0xfffd
	v_add_co_ci_u32_e32 v14, vcc_lo, 0, v9, vcc_lo
	s_delay_alu instid0(VALU_DEP_3) | instskip(SKIP_1) | instid1(VALU_DEP_2)
	v_cmp_ne_u32_e32 vcc_lo, 0, v10
	s_wait_alu 0xfffd
	v_cndmask_b32_e32 v8, v14, v12, vcc_lo
	v_cndmask_b32_e32 v10, v13, v11, vcc_lo
	v_cmp_ne_u32_e32 vcc_lo, 0, v7
	s_wait_alu 0xfffd
	s_delay_alu instid0(VALU_DEP_2)
	v_dual_cndmask_b32 v89, v9, v8 :: v_dual_cndmask_b32 v88, v4, v10
.LBB0_4:                                ;   in Loop: Header=BB0_2 Depth=1
	s_wait_alu 0xfffe
	s_and_not1_saveexec_b32 s2, s26
	s_cbranch_execz .LBB0_6
; %bb.5:                                ;   in Loop: Header=BB0_2 Depth=1
	v_cvt_f32_u32_e32 v4, s24
	s_sub_co_i32 s26, 0, s24
	v_mov_b32_e32 v89, v3
	s_delay_alu instid0(VALU_DEP_2) | instskip(NEXT) | instid1(TRANS32_DEP_1)
	v_rcp_iflag_f32_e32 v4, v4
	v_mul_f32_e32 v4, 0x4f7ffffe, v4
	s_delay_alu instid0(VALU_DEP_1) | instskip(SKIP_1) | instid1(VALU_DEP_1)
	v_cvt_u32_f32_e32 v4, v4
	s_wait_alu 0xfffe
	v_mul_lo_u32 v7, s26, v4
	s_delay_alu instid0(VALU_DEP_1) | instskip(NEXT) | instid1(VALU_DEP_1)
	v_mul_hi_u32 v7, v4, v7
	v_add_nc_u32_e32 v4, v4, v7
	s_delay_alu instid0(VALU_DEP_1) | instskip(NEXT) | instid1(VALU_DEP_1)
	v_mul_hi_u32 v4, v5, v4
	v_mul_lo_u32 v7, v4, s24
	v_add_nc_u32_e32 v8, 1, v4
	s_delay_alu instid0(VALU_DEP_2) | instskip(NEXT) | instid1(VALU_DEP_1)
	v_sub_nc_u32_e32 v7, v5, v7
	v_subrev_nc_u32_e32 v9, s24, v7
	v_cmp_le_u32_e32 vcc_lo, s24, v7
	s_wait_alu 0xfffd
	s_delay_alu instid0(VALU_DEP_2) | instskip(NEXT) | instid1(VALU_DEP_1)
	v_dual_cndmask_b32 v7, v7, v9 :: v_dual_cndmask_b32 v4, v4, v8
	v_cmp_le_u32_e32 vcc_lo, s24, v7
	s_delay_alu instid0(VALU_DEP_2) | instskip(SKIP_1) | instid1(VALU_DEP_1)
	v_add_nc_u32_e32 v8, 1, v4
	s_wait_alu 0xfffd
	v_cndmask_b32_e32 v88, v4, v8, vcc_lo
.LBB0_6:                                ;   in Loop: Header=BB0_2 Depth=1
	s_wait_alu 0xfffe
	s_or_b32 exec_lo, exec_lo, s2
	v_mul_lo_u32 v4, v89, s24
	s_delay_alu instid0(VALU_DEP_2)
	v_mul_lo_u32 v9, v88, s25
	s_load_b64 s[26:27], s[18:19], 0x0
	v_mad_co_u64_u32 v[7:8], null, v88, s24, 0
	s_load_b64 s[24:25], s[16:17], 0x0
	s_add_nc_u64 s[20:21], s[20:21], 1
	s_add_nc_u64 s[16:17], s[16:17], 8
	s_wait_alu 0xfffe
	v_cmp_ge_u64_e64 s2, s[20:21], s[10:11]
	s_add_nc_u64 s[18:19], s[18:19], 8
	s_add_nc_u64 s[22:23], s[22:23], 8
	v_add3_u32 v4, v8, v9, v4
	v_sub_co_u32 v5, vcc_lo, v5, v7
	s_wait_alu 0xfffd
	s_delay_alu instid0(VALU_DEP_2) | instskip(SKIP_2) | instid1(VALU_DEP_1)
	v_sub_co_ci_u32_e32 v4, vcc_lo, v6, v4, vcc_lo
	s_and_b32 vcc_lo, exec_lo, s2
	s_wait_kmcnt 0x0
	v_mul_lo_u32 v6, s26, v4
	v_mul_lo_u32 v7, s27, v5
	v_mad_co_u64_u32 v[1:2], null, s26, v5, v[1:2]
	v_mul_lo_u32 v4, s24, v4
	v_mul_lo_u32 v8, s25, v5
	v_mad_co_u64_u32 v[84:85], null, s24, v5, v[84:85]
	s_delay_alu instid0(VALU_DEP_4) | instskip(NEXT) | instid1(VALU_DEP_2)
	v_add3_u32 v2, v7, v2, v6
	v_add3_u32 v85, v8, v85, v4
	s_wait_alu 0xfffe
	s_cbranch_vccnz .LBB0_9
; %bb.7:                                ;   in Loop: Header=BB0_2 Depth=1
	v_dual_mov_b32 v5, v88 :: v_dual_mov_b32 v6, v89
	s_branch .LBB0_2
.LBB0_8:
	v_dual_mov_b32 v85, v2 :: v_dual_mov_b32 v84, v1
	v_dual_mov_b32 v89, v6 :: v_dual_mov_b32 v88, v5
.LBB0_9:
	s_load_b64 s[0:1], s[0:1], 0x28
	v_mul_hi_u32 v3, 0x226b903, v0
                                        ; implicit-def: $vgpr86
	s_wait_kmcnt 0x0
	s_delay_alu instid0(VALU_DEP_2) | instskip(SKIP_1) | instid1(VALU_DEP_1)
	v_cmp_gt_u64_e32 vcc_lo, s[0:1], v[88:89]
	v_cmp_le_u64_e64 s0, s[0:1], v[88:89]
	s_and_saveexec_b32 s1, s0
	s_wait_alu 0xfffe
	s_xor_b32 s0, exec_lo, s1
; %bb.10:
	s_delay_alu instid0(VALU_DEP_3) | instskip(NEXT) | instid1(VALU_DEP_1)
	v_mul_u32_u24_e32 v1, 0x77, v3
                                        ; implicit-def: $vgpr3
	v_sub_nc_u32_e32 v86, v0, v1
                                        ; implicit-def: $vgpr0
                                        ; implicit-def: $vgpr1_vgpr2
; %bb.11:
	s_wait_alu 0xfffe
	s_or_saveexec_b32 s1, s0
	s_lshl_b64 s[2:3], s[10:11], 3
	s_wait_alu 0xfffe
	s_xor_b32 exec_lo, exec_lo, s1
	s_cbranch_execz .LBB0_13
; %bb.12:
	s_add_nc_u64 s[10:11], s[12:13], s[2:3]
	v_lshlrev_b64_e32 v[1:2], 4, v[1:2]
	s_load_b64 s[10:11], s[10:11], 0x0
	s_wait_kmcnt 0x0
	v_mul_lo_u32 v6, s11, v88
	v_mul_lo_u32 v7, s10, v89
	v_mad_co_u64_u32 v[4:5], null, s10, v88, 0
	s_delay_alu instid0(VALU_DEP_1) | instskip(SKIP_1) | instid1(VALU_DEP_2)
	v_add3_u32 v5, v5, v7, v6
	v_mul_u32_u24_e32 v6, 0x77, v3
	v_lshlrev_b64_e32 v[3:4], 4, v[4:5]
	s_delay_alu instid0(VALU_DEP_2) | instskip(NEXT) | instid1(VALU_DEP_1)
	v_sub_nc_u32_e32 v86, v0, v6
	v_lshlrev_b32_e32 v64, 4, v86
	s_delay_alu instid0(VALU_DEP_3) | instskip(SKIP_1) | instid1(VALU_DEP_4)
	v_add_co_u32 v0, s0, s4, v3
	s_wait_alu 0xf1ff
	v_add_co_ci_u32_e64 v3, s0, s5, v4, s0
	s_delay_alu instid0(VALU_DEP_2) | instskip(SKIP_1) | instid1(VALU_DEP_2)
	v_add_co_u32 v0, s0, v0, v1
	s_wait_alu 0xf1ff
	v_add_co_ci_u32_e64 v1, s0, v3, v2, s0
	s_delay_alu instid0(VALU_DEP_2) | instskip(SKIP_1) | instid1(VALU_DEP_2)
	v_add_co_u32 v60, s0, v0, v64
	s_wait_alu 0xf1ff
	v_add_co_ci_u32_e64 v61, s0, 0, v1, s0
	s_clause 0xf
	global_load_b128 v[0:3], v[60:61], off
	global_load_b128 v[4:7], v[60:61], off offset:1904
	global_load_b128 v[8:11], v[60:61], off offset:3808
	;; [unrolled: 1-line block ×15, first 2 shown]
	v_add_nc_u32_e32 v64, 0, v64
	s_wait_loadcnt 0xf
	ds_store_b128 v64, v[0:3]
	s_wait_loadcnt 0xe
	ds_store_b128 v64, v[4:7] offset:1904
	s_wait_loadcnt 0xd
	ds_store_b128 v64, v[8:11] offset:3808
	;; [unrolled: 2-line block ×15, first 2 shown]
.LBB0_13:
	s_or_b32 exec_lo, exec_lo, s1
	v_lshl_add_u32 v174, v86, 4, 0
	global_wb scope:SCOPE_SE
	s_wait_dscnt 0x0
	s_barrier_signal -1
	s_barrier_wait -1
	global_inv scope:SCOPE_SE
	ds_load_b128 v[8:11], v174 offset:28672
	ds_load_b128 v[32:35], v174 offset:1792
	ds_load_b128 v[4:7], v174
	ds_load_b128 v[12:15], v174 offset:26880
	ds_load_b128 v[40:43], v174 offset:3584
	s_mov_b32 s22, 0x5d8e7cdc
	s_mov_b32 s4, 0x370991
	s_mov_b32 s23, 0xbfd71e95
	s_mov_b32 s5, 0x3fedd6d0
	ds_load_b128 v[44:47], v174 offset:5376
	ds_load_b128 v[16:19], v174 offset:25088
	s_mov_b32 s20, 0x2a9d6da3
	s_mov_b32 s12, 0x75d4884
	s_mov_b32 s21, 0xbfe58eea
	s_mov_b32 s13, 0x3fe7a5f6
	;; [unrolled: 6-line block ×3, first 2 shown]
	ds_load_b128 v[52:55], v174 offset:8960
	ds_load_b128 v[24:27], v174 offset:21504
	s_mov_b32 s36, 0xeb564b22
	s_mov_b32 s16, 0x3259b75e
	s_wait_dscnt 0x9
	v_add_f64_e64 v[158:159], v[34:35], -v[10:11]
	v_add_f64_e32 v[166:167], v[34:35], v[10:11]
	v_add_f64_e32 v[154:155], v[32:33], v[8:9]
	s_wait_dscnt 0x6
	v_add_f64_e64 v[96:97], v[42:43], -v[14:15]
	v_add_f64_e64 v[170:171], v[32:33], -v[8:9]
	v_add_f64_e32 v[72:73], v[42:43], v[14:15]
	v_add_f64_e32 v[74:75], v[40:41], v[12:13]
	s_wait_dscnt 0x4
	v_add_f64_e64 v[100:101], v[46:47], -v[18:19]
	v_add_f64_e64 v[102:103], v[40:41], -v[12:13]
	v_add_f64_e32 v[76:77], v[46:47], v[18:19]
	v_add_f64_e32 v[78:79], v[44:45], v[16:17]
	v_add_f64_e64 v[116:117], v[44:45], -v[16:17]
	s_wait_dscnt 0x2
	v_add_f64_e64 v[112:113], v[50:51], -v[22:23]
	v_add_f64_e32 v[80:81], v[50:51], v[22:23]
	s_mov_b32 s37, 0xbfefdd0d
	s_mov_b32 s17, 0x3fb79ee6
	v_add_f64_e32 v[82:83], v[48:49], v[20:21]
	v_add_f64_e64 v[118:119], v[48:49], -v[20:21]
	s_wait_dscnt 0x0
	v_add_f64_e64 v[114:115], v[54:55], -v[26:27]
	v_add_f64_e32 v[90:91], v[54:55], v[26:27]
	s_mov_b32 s18, 0xc61f0d01
	s_mov_b32 s42, 0x923c349f
	;; [unrolled: 1-line block ×4, first 2 shown]
	v_add_f64_e32 v[92:93], v[52:53], v[24:25]
	v_add_f64_e64 v[124:125], v[52:53], -v[24:25]
	s_mov_b32 s24, 0x6ed5f1bb
	s_mov_b32 s34, 0x6c9a05f6
	;; [unrolled: 1-line block ×12, first 2 shown]
	v_mul_f64_e32 v[156:157], s[22:23], v[158:159]
	s_wait_alu 0xfffe
	v_mul_f64_e32 v[172:173], s[4:5], v[166:167]
	s_add_nc_u64 s[2:3], s[14:15], s[2:3]
	v_mul_f64_e32 v[134:135], s[20:21], v[96:97]
	s_mov_b32 s33, exec_lo
	v_mul_f64_e32 v[136:137], s[12:13], v[72:73]
	v_mul_f64_e32 v[138:139], s[28:29], v[100:101]
	;; [unrolled: 1-line block ×7, first 2 shown]
	v_fma_f64 v[0:1], v[154:155], s[4:5], -v[156:157]
	v_fma_f64 v[2:3], v[170:171], s[22:23], v[172:173]
	v_fma_f64 v[28:29], v[74:75], s[12:13], -v[134:135]
	v_fma_f64 v[30:31], v[102:103], s[20:21], v[136:137]
	v_fma_f64 v[56:57], v[78:79], s[10:11], -v[138:139]
	v_fma_f64 v[58:59], v[116:117], s[28:29], v[140:141]
	v_fma_f64 v[68:69], v[82:83], s[16:17], -v[142:143]
	v_fma_f64 v[70:71], v[118:119], s[36:37], v[144:145]
	v_fma_f64 v[110:111], v[92:93], s[18:19], -v[146:147]
	v_fma_f64 v[132:133], v[124:125], s[42:43], v[148:149]
	v_add_f64_e32 v[0:1], v[4:5], v[0:1]
	v_add_f64_e32 v[2:3], v[6:7], v[2:3]
	s_delay_alu instid0(VALU_DEP_2) | instskip(NEXT) | instid1(VALU_DEP_2)
	v_add_f64_e32 v[0:1], v[28:29], v[0:1]
	v_add_f64_e32 v[2:3], v[30:31], v[2:3]
	ds_load_b128 v[28:31], v174 offset:19712
	ds_load_b128 v[60:63], v174 offset:10752
	;; [unrolled: 1-line block ×4, first 2 shown]
	s_wait_dscnt 0x2
	v_add_f64_e64 v[120:121], v[62:63], -v[30:31]
	v_add_f64_e32 v[94:95], v[62:63], v[30:31]
	v_add_f64_e32 v[98:99], v[60:61], v[28:29]
	v_add_f64_e64 v[126:127], v[60:61], -v[28:29]
	s_wait_dscnt 0x0
	v_add_f64_e64 v[122:123], v[66:67], -v[38:39]
	v_add_f64_e32 v[104:105], v[66:67], v[38:39]
	v_add_f64_e32 v[106:107], v[64:65], v[36:37]
	v_add_f64_e64 v[130:131], v[64:65], -v[36:37]
	v_add_f64_e32 v[0:1], v[56:57], v[0:1]
	v_add_f64_e32 v[2:3], v[58:59], v[2:3]
	v_mul_f64_e32 v[150:151], s[34:35], v[120:121]
	v_mul_f64_e32 v[152:153], s[24:25], v[94:95]
	;; [unrolled: 1-line block ×4, first 2 shown]
	v_add_f64_e32 v[0:1], v[68:69], v[0:1]
	v_add_f64_e32 v[2:3], v[70:71], v[2:3]
	ds_load_b128 v[68:71], v174 offset:14336
	ds_load_b128 v[56:59], v174 offset:16128
	global_wb scope:SCOPE_SE
	s_wait_dscnt 0x0
	s_barrier_signal -1
	s_barrier_wait -1
	global_inv scope:SCOPE_SE
	v_add_f64_e64 v[128:129], v[70:71], -v[58:59]
	v_add_f64_e32 v[108:109], v[70:71], v[58:59]
	v_fma_f64 v[175:176], v[98:99], s[24:25], -v[150:151]
	v_fma_f64 v[177:178], v[126:127], s[34:35], v[152:153]
	v_fma_f64 v[179:180], v[106:107], s[26:27], -v[160:161]
	v_fma_f64 v[181:182], v[130:131], s[38:39], v[164:165]
	v_add_f64_e32 v[0:1], v[110:111], v[0:1]
	v_add_f64_e32 v[2:3], v[132:133], v[2:3]
	;; [unrolled: 1-line block ×3, first 2 shown]
	v_add_f64_e64 v[132:133], v[68:69], -v[56:57]
	v_mul_f64_e32 v[162:163], s[40:41], v[128:129]
	v_mul_f64_e32 v[168:169], s[30:31], v[108:109]
	v_add_f64_e32 v[0:1], v[175:176], v[0:1]
	v_add_f64_e32 v[2:3], v[177:178], v[2:3]
	s_delay_alu instid0(VALU_DEP_4) | instskip(NEXT) | instid1(VALU_DEP_4)
	v_fma_f64 v[175:176], v[110:111], s[30:31], -v[162:163]
	v_fma_f64 v[177:178], v[132:133], s[40:41], v[168:169]
	s_delay_alu instid0(VALU_DEP_4) | instskip(NEXT) | instid1(VALU_DEP_4)
	v_add_f64_e32 v[0:1], v[179:180], v[0:1]
	v_add_f64_e32 v[2:3], v[181:182], v[2:3]
	s_delay_alu instid0(VALU_DEP_2) | instskip(NEXT) | instid1(VALU_DEP_2)
	v_add_f64_e32 v[0:1], v[175:176], v[0:1]
	v_add_f64_e32 v[2:3], v[177:178], v[2:3]
	v_cmpx_gt_u32_e32 0x70, v86
	s_cbranch_execz .LBB0_15
; %bb.14:
	v_add_f64_e32 v[32:33], v[4:5], v[32:33]
	v_add_f64_e32 v[34:35], v[6:7], v[34:35]
	s_mov_b32 s47, 0x3fd71e95
	s_mov_b32 s46, s22
	;; [unrolled: 1-line block ×9, first 2 shown]
	v_mul_f64_e32 v[185:186], s[14:15], v[132:133]
	v_mul_f64_e32 v[187:188], s[14:15], v[128:129]
	s_mov_b32 s48, s34
	s_mov_b32 s51, 0x3fe0d888
	;; [unrolled: 1-line block ×5, first 2 shown]
	v_mul_f64_e32 v[189:190], s[22:23], v[126:127]
	v_mul_f64_e32 v[191:192], s[22:23], v[120:121]
	;; [unrolled: 1-line block ×20, first 2 shown]
	v_add_f64_e32 v[32:33], v[32:33], v[40:41]
	v_add_f64_e32 v[34:35], v[34:35], v[42:43]
	v_mul_f64_e32 v[42:43], s[40:41], v[158:159]
	v_mul_f64_e32 v[40:41], s[22:23], v[170:171]
	;; [unrolled: 1-line block ×11, first 2 shown]
	v_add_f64_e32 v[32:33], v[32:33], v[44:45]
	v_add_f64_e32 v[34:35], v[34:35], v[46:47]
	v_mul_f64_e32 v[44:45], s[38:39], v[158:159]
	v_mul_f64_e32 v[46:47], s[34:35], v[158:159]
	v_add_f64_e64 v[40:41], v[172:173], -v[40:41]
	v_add_f64_e32 v[32:33], v[32:33], v[48:49]
	v_add_f64_e32 v[34:35], v[34:35], v[50:51]
	v_mul_f64_e32 v[48:49], s[42:43], v[158:159]
	v_mul_f64_e32 v[50:51], s[36:37], v[158:159]
	s_delay_alu instid0(VALU_DEP_4) | instskip(NEXT) | instid1(VALU_DEP_4)
	v_add_f64_e32 v[32:33], v[32:33], v[52:53]
	v_add_f64_e32 v[34:35], v[34:35], v[54:55]
	v_mul_f64_e32 v[52:53], s[28:29], v[158:159]
	v_mul_f64_e32 v[54:55], s[20:21], v[158:159]
	s_delay_alu instid0(VALU_DEP_4) | instskip(NEXT) | instid1(VALU_DEP_4)
	v_add_f64_e32 v[32:33], v[32:33], v[60:61]
	v_add_f64_e32 v[34:35], v[34:35], v[62:63]
	v_fma_f64 v[60:61], v[154:155], s[24:25], -v[46:47]
	v_fma_f64 v[46:47], v[154:155], s[24:25], v[46:47]
	v_fma_f64 v[62:63], v[154:155], s[18:19], -v[48:49]
	v_fma_f64 v[48:49], v[154:155], s[18:19], v[48:49]
	v_add_f64_e32 v[32:33], v[32:33], v[64:65]
	v_add_f64_e32 v[34:35], v[34:35], v[66:67]
	v_fma_f64 v[64:65], v[154:155], s[16:17], -v[50:51]
	v_fma_f64 v[50:51], v[154:155], s[16:17], v[50:51]
	v_fma_f64 v[66:67], v[154:155], s[10:11], -v[52:53]
	v_fma_f64 v[52:53], v[154:155], s[10:11], v[52:53]
	v_add_f64_e32 v[60:61], v[4:5], v[60:61]
	v_add_f64_e32 v[62:63], v[4:5], v[62:63]
	;; [unrolled: 1-line block ×5, first 2 shown]
	v_mul_f64_e32 v[70:71], s[4:5], v[154:155]
	v_fma_f64 v[68:69], v[154:155], s[12:13], -v[54:55]
	v_fma_f64 v[54:55], v[154:155], s[12:13], v[54:55]
	v_add_f64_e32 v[64:65], v[4:5], v[64:65]
	v_add_f64_e32 v[50:51], v[4:5], v[50:51]
	;; [unrolled: 1-line block ×6, first 2 shown]
	v_fma_f64 v[56:57], v[154:155], s[30:31], -v[42:43]
	v_fma_f64 v[42:43], v[154:155], s[30:31], v[42:43]
	v_fma_f64 v[58:59], v[154:155], s[26:27], -v[44:45]
	v_fma_f64 v[44:45], v[154:155], s[26:27], v[44:45]
	v_add_f64_e32 v[70:71], v[70:71], v[156:157]
	v_add_f64_e32 v[32:33], v[32:33], v[36:37]
	;; [unrolled: 1-line block ×3, first 2 shown]
	v_mul_f64_e32 v[36:37], s[20:21], v[170:171]
	v_add_f64_e32 v[56:57], v[4:5], v[56:57]
	v_add_f64_e32 v[42:43], v[4:5], v[42:43]
	v_add_f64_e32 v[58:59], v[4:5], v[58:59]
	v_add_f64_e32 v[44:45], v[4:5], v[44:45]
	v_add_f64_e32 v[28:29], v[32:33], v[28:29]
	v_add_f64_e32 v[30:31], v[34:35], v[30:31]
	v_mul_f64_e32 v[32:33], s[28:29], v[170:171]
	v_fma_f64 v[38:39], v[166:167], s[12:13], v[36:37]
	v_fma_f64 v[36:37], v[166:167], s[12:13], -v[36:37]
	v_add_f64_e32 v[24:25], v[28:29], v[24:25]
	v_add_f64_e32 v[26:27], v[30:31], v[26:27]
	v_mul_f64_e32 v[28:29], s[36:37], v[170:171]
	v_fma_f64 v[34:35], v[166:167], s[10:11], v[32:33]
	v_fma_f64 v[32:33], v[166:167], s[10:11], -v[32:33]
	v_add_f64_e32 v[20:21], v[24:25], v[20:21]
	v_add_f64_e32 v[22:23], v[26:27], v[22:23]
	;; [unrolled: 5-line block ×3, first 2 shown]
	v_add_f64_e32 v[181:182], v[6:7], v[32:33]
	v_add_f64_e32 v[32:33], v[6:7], v[36:37]
	;; [unrolled: 1-line block ×4, first 2 shown]
	v_mul_f64_e32 v[20:21], s[34:35], v[170:171]
	v_fma_f64 v[26:27], v[166:167], s[18:19], v[24:25]
	v_fma_f64 v[24:25], v[166:167], s[18:19], -v[24:25]
	v_add_f64_e32 v[175:176], v[6:7], v[30:31]
	v_add_f64_e32 v[30:31], v[4:5], v[70:71]
	;; [unrolled: 1-line block ×6, first 2 shown]
	v_mul_f64_e32 v[16:17], s[38:39], v[170:171]
	v_fma_f64 v[22:23], v[166:167], s[24:25], v[20:21]
	v_fma_f64 v[20:21], v[166:167], s[24:25], -v[20:21]
	v_add_f64_e32 v[172:173], v[6:7], v[26:27]
	v_add_f64_e32 v[8:9], v[12:13], v[8:9]
	v_mul_f64_e32 v[12:13], s[40:41], v[170:171]
	v_add_f64_e32 v[10:11], v[14:15], v[10:11]
	v_fma_f64 v[18:19], v[166:167], s[26:27], v[16:17]
	v_fma_f64 v[16:17], v[166:167], s[26:27], -v[16:17]
	v_add_f64_e32 v[158:159], v[6:7], v[22:23]
	v_add_f64_e32 v[170:171], v[4:5], v[46:47]
	v_mul_f64_e32 v[22:23], s[38:39], v[116:117]
	v_add_f64_e32 v[46:47], v[6:7], v[24:25]
	v_fma_f64 v[14:15], v[166:167], s[30:31], v[12:13]
	v_fma_f64 v[12:13], v[166:167], s[30:31], -v[12:13]
	v_add_f64_e32 v[166:167], v[6:7], v[20:21]
	v_mul_f64_e32 v[20:21], s[46:47], v[102:103]
	v_add_f64_e32 v[156:157], v[6:7], v[16:17]
	v_add_f64_e32 v[16:17], v[4:5], v[68:69]
	v_fma_f64 v[24:25], v[76:77], s[26:27], v[22:23]
	v_add_f64_e32 v[154:155], v[6:7], v[18:19]
	v_add_f64_e32 v[18:19], v[6:7], v[38:39]
	v_add_f64_e32 v[14:15], v[6:7], v[14:15]
	v_add_f64_e32 v[12:13], v[6:7], v[12:13]
	v_fma_f64 v[4:5], v[72:73], s[4:5], v[20:21]
	v_fma_f64 v[20:21], v[72:73], s[4:5], -v[20:21]
	s_delay_alu instid0(VALU_DEP_2) | instskip(SKIP_1) | instid1(VALU_DEP_3)
	v_add_f64_e32 v[4:5], v[4:5], v[14:15]
	v_mul_f64_e32 v[14:15], s[46:47], v[96:97]
	v_add_f64_e32 v[12:13], v[20:21], v[12:13]
	v_fma_f64 v[20:21], v[76:77], s[26:27], -v[22:23]
	v_fma_f64 v[22:23], v[110:111], s[16:17], v[187:188]
	v_add_f64_e32 v[4:5], v[24:25], v[4:5]
	v_fma_f64 v[6:7], v[74:75], s[4:5], -v[14:15]
	v_mul_f64_e32 v[24:25], s[38:39], v[100:101]
	v_fma_f64 v[14:15], v[74:75], s[4:5], v[14:15]
	v_add_f64_e32 v[12:13], v[20:21], v[12:13]
	s_delay_alu instid0(VALU_DEP_4) | instskip(NEXT) | instid1(VALU_DEP_4)
	v_add_f64_e32 v[6:7], v[6:7], v[56:57]
	v_fma_f64 v[26:27], v[78:79], s[26:27], -v[24:25]
	s_delay_alu instid0(VALU_DEP_4) | instskip(SKIP_3) | instid1(VALU_DEP_4)
	v_add_f64_e32 v[14:15], v[14:15], v[42:43]
	v_fma_f64 v[20:21], v[78:79], s[26:27], v[24:25]
	s_wait_alu 0xfffe
	v_mul_f64_e32 v[24:25], s[0:1], v[102:103]
	v_add_f64_e32 v[6:7], v[26:27], v[6:7]
	v_mul_f64_e32 v[26:27], s[44:45], v[118:119]
	s_delay_alu instid0(VALU_DEP_4) | instskip(NEXT) | instid1(VALU_DEP_2)
	v_add_f64_e32 v[14:15], v[20:21], v[14:15]
	v_fma_f64 v[36:37], v[80:81], s[12:13], v[26:27]
	v_fma_f64 v[20:21], v[80:81], s[12:13], -v[26:27]
	v_mul_f64_e32 v[26:27], s[0:1], v[96:97]
	s_delay_alu instid0(VALU_DEP_3) | instskip(SKIP_1) | instid1(VALU_DEP_4)
	v_add_f64_e32 v[4:5], v[36:37], v[4:5]
	v_mul_f64_e32 v[36:37], s[44:45], v[112:113]
	v_add_f64_e32 v[12:13], v[20:21], v[12:13]
	s_delay_alu instid0(VALU_DEP_2) | instskip(SKIP_2) | instid1(VALU_DEP_3)
	v_fma_f64 v[38:39], v[82:83], s[12:13], -v[36:37]
	v_fma_f64 v[20:21], v[82:83], s[12:13], v[36:37]
	v_mul_f64_e32 v[36:37], s[36:37], v[116:117]
	v_add_f64_e32 v[6:7], v[38:39], v[6:7]
	v_mul_f64_e32 v[38:39], s[34:35], v[124:125]
	s_delay_alu instid0(VALU_DEP_4) | instskip(NEXT) | instid1(VALU_DEP_2)
	v_add_f64_e32 v[14:15], v[20:21], v[14:15]
	v_fma_f64 v[40:41], v[90:91], s[24:25], v[38:39]
	v_fma_f64 v[20:21], v[90:91], s[24:25], -v[38:39]
	v_fma_f64 v[38:39], v[76:77], s[16:17], v[36:37]
	v_fma_f64 v[36:37], v[76:77], s[16:17], -v[36:37]
	s_delay_alu instid0(VALU_DEP_4) | instskip(SKIP_2) | instid1(VALU_DEP_2)
	v_add_f64_e32 v[4:5], v[40:41], v[4:5]
	v_mul_f64_e32 v[40:41], s[34:35], v[114:115]
	v_add_f64_e32 v[12:13], v[20:21], v[12:13]
	v_fma_f64 v[54:55], v[92:93], s[24:25], -v[40:41]
	v_fma_f64 v[20:21], v[92:93], s[24:25], v[40:41]
	s_delay_alu instid0(VALU_DEP_2) | instskip(SKIP_1) | instid1(VALU_DEP_3)
	v_add_f64_e32 v[6:7], v[54:55], v[6:7]
	v_mul_f64_e32 v[54:55], s[0:1], v[126:127]
	v_add_f64_e32 v[14:15], v[20:21], v[14:15]
	s_delay_alu instid0(VALU_DEP_2) | instskip(SKIP_1) | instid1(VALU_DEP_2)
	v_fma_f64 v[56:57], v[94:95], s[10:11], v[54:55]
	v_fma_f64 v[20:21], v[94:95], s[10:11], -v[54:55]
	v_add_f64_e32 v[4:5], v[56:57], v[4:5]
	v_mul_f64_e32 v[56:57], s[0:1], v[120:121]
	s_delay_alu instid0(VALU_DEP_3) | instskip(NEXT) | instid1(VALU_DEP_2)
	v_add_f64_e32 v[12:13], v[20:21], v[12:13]
	v_fma_f64 v[68:69], v[98:99], s[10:11], -v[56:57]
	v_fma_f64 v[20:21], v[98:99], s[10:11], v[56:57]
	s_delay_alu instid0(VALU_DEP_2) | instskip(SKIP_1) | instid1(VALU_DEP_3)
	v_add_f64_e32 v[6:7], v[68:69], v[6:7]
	v_mul_f64_e32 v[68:69], s[42:43], v[130:131]
	v_add_f64_e32 v[14:15], v[20:21], v[14:15]
	s_delay_alu instid0(VALU_DEP_2) | instskip(SKIP_1) | instid1(VALU_DEP_2)
	v_fma_f64 v[70:71], v[104:105], s[18:19], v[68:69]
	v_fma_f64 v[20:21], v[104:105], s[18:19], -v[68:69]
	v_add_f64_e32 v[4:5], v[70:71], v[4:5]
	v_mul_f64_e32 v[70:71], s[42:43], v[122:123]
	s_delay_alu instid0(VALU_DEP_3) | instskip(NEXT) | instid1(VALU_DEP_2)
	v_add_f64_e32 v[12:13], v[20:21], v[12:13]
	v_fma_f64 v[20:21], v[106:107], s[18:19], v[70:71]
	v_fma_f64 v[183:184], v[106:107], s[18:19], -v[70:71]
	s_delay_alu instid0(VALU_DEP_2) | instskip(SKIP_1) | instid1(VALU_DEP_3)
	v_add_f64_e32 v[20:21], v[20:21], v[14:15]
	v_fma_f64 v[14:15], v[108:109], s[16:17], -v[185:186]
	v_add_f64_e32 v[183:184], v[183:184], v[6:7]
	v_fma_f64 v[6:7], v[108:109], s[16:17], v[185:186]
	v_mul_f64_e32 v[185:186], s[42:43], v[132:133]
	s_delay_alu instid0(VALU_DEP_4)
	v_add_f64_e32 v[14:15], v[14:15], v[12:13]
	v_add_f64_e32 v[12:13], v[22:23], v[20:21]
	v_fma_f64 v[20:21], v[72:73], s[10:11], v[24:25]
	v_fma_f64 v[22:23], v[74:75], s[10:11], -v[26:27]
	v_fma_f64 v[24:25], v[72:73], s[10:11], -v[24:25]
	v_fma_f64 v[26:27], v[74:75], s[10:11], v[26:27]
	v_add_f64_e32 v[6:7], v[6:7], v[4:5]
	v_fma_f64 v[4:5], v[110:111], s[16:17], -v[187:188]
	v_mul_f64_e32 v[187:188], s[42:43], v[128:129]
	v_add_f64_e32 v[20:21], v[20:21], v[154:155]
	v_add_f64_e32 v[22:23], v[22:23], v[58:59]
	;; [unrolled: 1-line block ×4, first 2 shown]
	v_mul_f64_e32 v[44:45], s[10:11], v[78:79]
	v_add_f64_e32 v[4:5], v[4:5], v[183:184]
	v_mul_f64_e32 v[156:157], s[46:47], v[128:129]
	v_mul_f64_e32 v[128:129], s[0:1], v[128:129]
	v_add_f64_e32 v[20:21], v[38:39], v[20:21]
	v_mul_f64_e32 v[38:39], s[36:37], v[100:101]
	v_add_f64_e32 v[24:25], v[36:37], v[24:25]
	v_add_f64_e32 v[44:45], v[44:45], v[138:139]
	v_mul_f64_e32 v[138:139], s[40:41], v[118:119]
	s_delay_alu instid0(VALU_DEP_4) | instskip(SKIP_2) | instid1(VALU_DEP_3)
	v_fma_f64 v[40:41], v[78:79], s[16:17], -v[38:39]
	v_fma_f64 v[36:37], v[78:79], s[16:17], v[38:39]
	v_fma_f64 v[38:39], v[110:111], s[18:19], v[187:188]
	v_add_f64_e32 v[22:23], v[40:41], v[22:23]
	v_mul_f64_e32 v[40:41], s[48:49], v[118:119]
	s_delay_alu instid0(VALU_DEP_4) | instskip(NEXT) | instid1(VALU_DEP_2)
	v_add_f64_e32 v[26:27], v[36:37], v[26:27]
	v_fma_f64 v[42:43], v[80:81], s[24:25], v[40:41]
	v_fma_f64 v[36:37], v[80:81], s[24:25], -v[40:41]
	v_mul_f64_e32 v[40:41], s[20:21], v[102:103]
	s_delay_alu instid0(VALU_DEP_3) | instskip(SKIP_1) | instid1(VALU_DEP_4)
	v_add_f64_e32 v[20:21], v[42:43], v[20:21]
	v_mul_f64_e32 v[42:43], s[48:49], v[112:113]
	v_add_f64_e32 v[24:25], v[36:37], v[24:25]
	s_delay_alu instid0(VALU_DEP_4) | instskip(SKIP_1) | instid1(VALU_DEP_4)
	v_add_f64_e64 v[40:41], v[136:137], -v[40:41]
	v_mul_f64_e32 v[136:137], s[34:35], v[100:101]
	v_fma_f64 v[54:55], v[82:83], s[24:25], -v[42:43]
	v_fma_f64 v[36:37], v[82:83], s[24:25], v[42:43]
	v_mul_f64_e32 v[42:43], s[16:17], v[82:83]
	v_add_f64_e32 v[28:29], v[40:41], v[28:29]
	v_mul_f64_e32 v[40:41], s[24:25], v[98:99]
	v_add_f64_e32 v[22:23], v[54:55], v[22:23]
	;; [unrolled: 2-line block ×3, first 2 shown]
	v_add_f64_e32 v[42:43], v[42:43], v[142:143]
	v_add_f64_e32 v[40:41], v[40:41], v[150:151]
	v_mul_f64_e32 v[142:143], s[50:51], v[124:125]
	v_mul_f64_e32 v[150:151], s[0:1], v[130:131]
	v_fma_f64 v[56:57], v[90:91], s[4:5], v[54:55]
	v_fma_f64 v[36:37], v[90:91], s[4:5], -v[54:55]
	v_mul_f64_e32 v[54:55], s[12:13], v[74:75]
	s_delay_alu instid0(VALU_DEP_3) | instskip(SKIP_1) | instid1(VALU_DEP_4)
	v_add_f64_e32 v[20:21], v[56:57], v[20:21]
	v_mul_f64_e32 v[56:57], s[22:23], v[114:115]
	v_add_f64_e32 v[24:25], v[36:37], v[24:25]
	s_delay_alu instid0(VALU_DEP_4) | instskip(SKIP_1) | instid1(VALU_DEP_4)
	v_add_f64_e32 v[54:55], v[54:55], v[134:135]
	v_mul_f64_e32 v[134:135], s[34:35], v[116:117]
	v_fma_f64 v[58:59], v[92:93], s[4:5], -v[56:57]
	v_fma_f64 v[36:37], v[92:93], s[4:5], v[56:57]
	s_delay_alu instid0(VALU_DEP_4)
	v_add_f64_e32 v[30:31], v[54:55], v[30:31]
	v_mul_f64_e32 v[56:57], s[42:43], v[124:125]
	s_mov_b32 s43, 0x3feec746
	s_wait_alu 0xfffe
	v_mul_f64_e32 v[203:204], s[42:43], v[116:117]
	v_mul_f64_e32 v[205:206], s[42:43], v[100:101]
	;; [unrolled: 1-line block ×3, first 2 shown]
	v_add_f64_e32 v[22:23], v[58:59], v[22:23]
	v_mul_f64_e32 v[58:59], s[40:41], v[126:127]
	v_add_f64_e32 v[26:27], v[36:37], v[26:27]
	v_add_f64_e32 v[30:31], v[44:45], v[30:31]
	v_add_f64_e64 v[56:57], v[148:149], -v[56:57]
	v_mul_f64_e32 v[148:149], s[42:43], v[120:121]
	v_fma_f64 v[44:45], v[76:77], s[18:19], -v[203:204]
	v_fma_f64 v[68:69], v[94:95], s[30:31], v[58:59]
	v_fma_f64 v[36:37], v[94:95], s[30:31], -v[58:59]
	v_mul_f64_e32 v[58:59], s[18:19], v[92:93]
	v_add_f64_e32 v[30:31], v[42:43], v[30:31]
	v_mul_f64_e32 v[42:43], s[40:41], v[132:133]
	v_add_f64_e32 v[20:21], v[68:69], v[20:21]
	;; [unrolled: 2-line block ×3, first 2 shown]
	v_add_f64_e32 v[58:59], v[58:59], v[146:147]
	v_add_f64_e64 v[42:43], v[168:169], -v[42:43]
	v_mul_f64_e32 v[146:147], s[42:43], v[126:127]
	v_mul_f64_e32 v[168:169], s[52:53], v[100:101]
	;; [unrolled: 1-line block ×4, first 2 shown]
	v_fma_f64 v[70:71], v[98:99], s[30:31], -v[68:69]
	v_fma_f64 v[36:37], v[98:99], s[30:31], v[68:69]
	v_mul_f64_e32 v[68:69], s[34:35], v[126:127]
	v_add_f64_e32 v[30:31], v[58:59], v[30:31]
	v_mul_f64_e32 v[58:59], s[50:51], v[96:97]
	v_add_f64_e32 v[22:23], v[70:71], v[22:23]
	;; [unrolled: 2-line block ×3, first 2 shown]
	v_add_f64_e64 v[68:69], v[152:153], -v[68:69]
	v_add_f64_e32 v[30:31], v[40:41], v[30:31]
	v_mul_f64_e32 v[40:41], s[30:31], v[110:111]
	v_mul_f64_e32 v[152:153], s[0:1], v[122:123]
	v_fma_f64 v[154:155], v[104:105], s[12:13], v[70:71]
	v_fma_f64 v[36:37], v[104:105], s[12:13], -v[70:71]
	v_mul_f64_e32 v[70:71], s[36:37], v[96:97]
	v_add_f64_e32 v[40:41], v[40:41], v[162:163]
	v_mul_f64_e32 v[162:163], s[34:35], v[96:97]
	v_add_f64_e32 v[20:21], v[154:155], v[20:21]
	;; [unrolled: 2-line block ×3, first 2 shown]
	v_mul_f64_e32 v[122:123], s[40:41], v[122:123]
	s_delay_alu instid0(VALU_DEP_3) | instskip(SKIP_2) | instid1(VALU_DEP_3)
	v_fma_f64 v[36:37], v[106:107], s[12:13], v[154:155]
	v_fma_f64 v[183:184], v[106:107], s[12:13], -v[154:155]
	v_mul_f64_e32 v[154:155], s[46:47], v[132:133]
	v_add_f64_e32 v[36:37], v[36:37], v[26:27]
	v_fma_f64 v[26:27], v[108:109], s[18:19], -v[185:186]
	s_delay_alu instid0(VALU_DEP_4) | instskip(SKIP_2) | instid1(VALU_DEP_4)
	v_add_f64_e32 v[183:184], v[183:184], v[22:23]
	v_fma_f64 v[22:23], v[108:109], s[18:19], v[185:186]
	v_mul_f64_e32 v[185:186], s[44:45], v[124:125]
	v_add_f64_e32 v[26:27], v[26:27], v[24:25]
	v_add_f64_e32 v[24:25], v[38:39], v[36:37]
	v_mul_f64_e32 v[38:39], s[28:29], v[116:117]
	v_mul_f64_e32 v[36:37], s[36:37], v[118:119]
	v_add_f64_e32 v[22:23], v[22:23], v[20:21]
	v_fma_f64 v[20:21], v[110:111], s[18:19], -v[187:188]
	v_mul_f64_e32 v[187:188], s[44:45], v[114:115]
	v_add_f64_e64 v[38:39], v[140:141], -v[38:39]
	v_add_f64_e64 v[36:37], v[144:145], -v[36:37]
	v_mul_f64_e32 v[140:141], s[40:41], v[112:113]
	v_mul_f64_e32 v[144:145], s[50:51], v[114:115]
	v_add_f64_e32 v[20:21], v[20:21], v[183:184]
	v_mul_f64_e32 v[183:184], s[42:43], v[112:113]
	v_mul_f64_e32 v[112:113], s[38:39], v[112:113]
	;; [unrolled: 1-line block ×3, first 2 shown]
	v_add_f64_e32 v[28:29], v[38:39], v[28:29]
	v_mul_f64_e32 v[38:39], s[38:39], v[130:131]
	s_delay_alu instid0(VALU_DEP_2) | instskip(SKIP_1) | instid1(VALU_DEP_3)
	v_add_f64_e32 v[28:29], v[36:37], v[28:29]
	v_mul_f64_e32 v[36:37], s[26:27], v[106:107]
	v_add_f64_e64 v[38:39], v[164:165], -v[38:39]
	v_mul_f64_e32 v[164:165], s[52:53], v[116:117]
	s_delay_alu instid0(VALU_DEP_4) | instskip(NEXT) | instid1(VALU_DEP_4)
	v_add_f64_e32 v[28:29], v[56:57], v[28:29]
	v_add_f64_e32 v[36:37], v[36:37], v[160:161]
	v_mul_f64_e32 v[160:161], s[34:35], v[102:103]
	v_mul_f64_e32 v[56:57], s[50:51], v[102:103]
	s_delay_alu instid0(VALU_DEP_4) | instskip(NEXT) | instid1(VALU_DEP_4)
	v_add_f64_e32 v[28:29], v[68:69], v[28:29]
	v_add_f64_e32 v[36:37], v[36:37], v[30:31]
	v_mul_f64_e32 v[68:69], s[36:37], v[102:103]
	s_delay_alu instid0(VALU_DEP_3) | instskip(SKIP_1) | instid1(VALU_DEP_2)
	v_add_f64_e32 v[28:29], v[38:39], v[28:29]
	v_fma_f64 v[38:39], v[74:75], s[24:25], v[162:163]
	v_add_f64_e32 v[30:31], v[42:43], v[28:29]
	v_add_f64_e32 v[28:29], v[40:41], v[36:37]
	v_fma_f64 v[36:37], v[72:73], s[16:17], -v[68:69]
	v_fma_f64 v[40:41], v[76:77], s[30:31], -v[164:165]
	v_add_f64_e32 v[38:39], v[38:39], v[52:53]
	v_mul_f64_e32 v[52:53], s[42:43], v[102:103]
	v_fma_f64 v[68:69], v[72:73], s[16:17], v[68:69]
	v_add_f64_e32 v[32:33], v[36:37], v[32:33]
	v_fma_f64 v[36:37], v[74:75], s[16:17], v[70:71]
	v_fma_f64 v[70:71], v[74:75], s[16:17], -v[70:71]
	s_delay_alu instid0(VALU_DEP_4) | instskip(SKIP_1) | instid1(VALU_DEP_4)
	v_add_f64_e32 v[18:19], v[68:69], v[18:19]
	v_fma_f64 v[68:69], v[78:79], s[24:25], -v[136:137]
	v_add_f64_e32 v[34:35], v[36:37], v[34:35]
	v_fma_f64 v[36:37], v[76:77], s[24:25], -v[134:135]
	v_add_f64_e32 v[16:17], v[70:71], v[16:17]
	v_fma_f64 v[70:71], v[80:81], s[30:31], v[138:139]
	s_delay_alu instid0(VALU_DEP_3) | instskip(SKIP_1) | instid1(VALU_DEP_4)
	v_add_f64_e32 v[32:33], v[36:37], v[32:33]
	v_fma_f64 v[36:37], v[78:79], s[24:25], v[136:137]
	v_add_f64_e32 v[16:17], v[68:69], v[16:17]
	v_fma_f64 v[68:69], v[90:91], s[26:27], v[142:143]
	s_delay_alu instid0(VALU_DEP_3) | instskip(SKIP_1) | instid1(VALU_DEP_1)
	v_add_f64_e32 v[34:35], v[36:37], v[34:35]
	v_fma_f64 v[36:37], v[80:81], s[30:31], -v[138:139]
	v_add_f64_e32 v[32:33], v[36:37], v[32:33]
	v_fma_f64 v[36:37], v[82:83], s[30:31], v[140:141]
	s_delay_alu instid0(VALU_DEP_1) | instskip(SKIP_1) | instid1(VALU_DEP_1)
	v_add_f64_e32 v[34:35], v[36:37], v[34:35]
	v_fma_f64 v[36:37], v[90:91], s[26:27], -v[142:143]
	v_add_f64_e32 v[32:33], v[36:37], v[32:33]
	v_fma_f64 v[36:37], v[92:93], s[26:27], v[144:145]
	s_delay_alu instid0(VALU_DEP_1) | instskip(SKIP_1) | instid1(VALU_DEP_1)
	;; [unrolled: 5-line block ×5, first 2 shown]
	v_add_f64_e32 v[32:33], v[32:33], v[36:37]
	v_fma_f64 v[36:37], v[72:73], s[24:25], -v[160:161]
	v_add_f64_e32 v[36:37], v[36:37], v[181:182]
	v_mul_f64_e32 v[181:182], s[42:43], v[118:119]
	s_delay_alu instid0(VALU_DEP_2) | instskip(SKIP_1) | instid1(VALU_DEP_1)
	v_add_f64_e32 v[36:37], v[40:41], v[36:37]
	v_fma_f64 v[40:41], v[78:79], s[30:31], v[168:169]
	v_add_f64_e32 v[38:39], v[40:41], v[38:39]
	s_delay_alu instid0(VALU_DEP_4) | instskip(NEXT) | instid1(VALU_DEP_1)
	v_fma_f64 v[40:41], v[80:81], s[18:19], -v[181:182]
	v_add_f64_e32 v[36:37], v[40:41], v[36:37]
	v_fma_f64 v[40:41], v[82:83], s[18:19], v[183:184]
	s_delay_alu instid0(VALU_DEP_1) | instskip(SKIP_1) | instid1(VALU_DEP_1)
	v_add_f64_e32 v[38:39], v[40:41], v[38:39]
	v_fma_f64 v[40:41], v[90:91], s[12:13], -v[185:186]
	v_add_f64_e32 v[36:37], v[40:41], v[36:37]
	v_fma_f64 v[40:41], v[92:93], s[12:13], v[187:188]
	s_delay_alu instid0(VALU_DEP_1) | instskip(SKIP_1) | instid1(VALU_DEP_1)
	v_add_f64_e32 v[38:39], v[40:41], v[38:39]
	;; [unrolled: 5-line block ×5, first 2 shown]
	v_fma_f64 v[40:41], v[72:73], s[30:31], -v[201:202]
	v_add_f64_e32 v[40:41], v[40:41], v[177:178]
	v_mul_f64_e32 v[177:178], s[40:41], v[96:97]
	v_mul_f64_e32 v[96:97], s[22:23], v[116:117]
	s_delay_alu instid0(VALU_DEP_3) | instskip(NEXT) | instid1(VALU_DEP_3)
	v_add_f64_e32 v[40:41], v[44:45], v[40:41]
	v_fma_f64 v[42:43], v[74:75], s[30:31], v[177:178]
	v_fma_f64 v[44:45], v[78:79], s[18:19], v[205:206]
	s_delay_alu instid0(VALU_DEP_4) | instskip(NEXT) | instid1(VALU_DEP_3)
	v_fma_f64 v[102:103], v[76:77], s[4:5], -v[96:97]
	v_add_f64_e32 v[42:43], v[42:43], v[50:51]
	v_fma_f64 v[50:51], v[74:75], s[18:19], v[54:55]
	v_fma_f64 v[54:55], v[74:75], s[18:19], -v[54:55]
	s_delay_alu instid0(VALU_DEP_3) | instskip(SKIP_1) | instid1(VALU_DEP_4)
	v_add_f64_e32 v[42:43], v[44:45], v[42:43]
	v_fma_f64 v[44:45], v[80:81], s[4:5], -v[207:208]
	v_add_f64_e32 v[50:51], v[50:51], v[170:171]
	s_delay_alu instid0(VALU_DEP_4) | instskip(SKIP_4) | instid1(VALU_DEP_1)
	v_add_f64_e32 v[54:55], v[54:55], v[60:61]
	v_fma_f64 v[60:61], v[76:77], s[4:5], v[96:97]
	v_fma_f64 v[96:97], v[110:111], s[10:11], -v[128:129]
	v_add_f64_e32 v[40:41], v[44:45], v[40:41]
	v_fma_f64 v[44:45], v[82:83], s[4:5], v[209:210]
	v_add_f64_e32 v[42:43], v[44:45], v[42:43]
	v_fma_f64 v[44:45], v[90:91], s[10:11], -v[211:212]
	s_delay_alu instid0(VALU_DEP_1) | instskip(SKIP_1) | instid1(VALU_DEP_1)
	v_add_f64_e32 v[40:41], v[44:45], v[40:41]
	v_fma_f64 v[44:45], v[92:93], s[10:11], v[213:214]
	v_add_f64_e32 v[42:43], v[44:45], v[42:43]
	v_fma_f64 v[44:45], v[94:95], s[26:27], -v[215:216]
	s_delay_alu instid0(VALU_DEP_1) | instskip(SKIP_1) | instid1(VALU_DEP_1)
	;; [unrolled: 5-line block ×4, first 2 shown]
	v_add_f64_e32 v[42:43], v[42:43], v[40:41]
	v_fma_f64 v[40:41], v[110:111], s[12:13], v[225:226]
	v_add_f64_e32 v[40:41], v[40:41], v[44:45]
	v_fma_f64 v[44:45], v[72:73], s[26:27], -v[56:57]
	v_fma_f64 v[56:57], v[72:73], s[26:27], v[56:57]
	s_delay_alu instid0(VALU_DEP_2) | instskip(SKIP_1) | instid1(VALU_DEP_3)
	v_add_f64_e32 v[44:45], v[44:45], v[46:47]
	v_fma_f64 v[46:47], v[74:75], s[26:27], v[58:59]
	v_add_f64_e32 v[56:57], v[56:57], v[172:173]
	v_fma_f64 v[58:59], v[74:75], s[26:27], -v[58:59]
	s_delay_alu instid0(VALU_DEP_3) | instskip(SKIP_1) | instid1(VALU_DEP_3)
	v_add_f64_e32 v[46:47], v[46:47], v[48:49]
	v_fma_f64 v[48:49], v[76:77], s[12:13], -v[227:228]
	v_add_f64_e32 v[58:59], v[58:59], v[62:63]
	v_fma_f64 v[62:63], v[110:111], s[24:25], -v[249:250]
	s_delay_alu instid0(VALU_DEP_3) | instskip(SKIP_1) | instid1(VALU_DEP_1)
	v_add_f64_e32 v[44:45], v[48:49], v[44:45]
	v_fma_f64 v[48:49], v[78:79], s[12:13], v[229:230]
	v_add_f64_e32 v[46:47], v[48:49], v[46:47]
	v_fma_f64 v[48:49], v[80:81], s[10:11], -v[231:232]
	s_delay_alu instid0(VALU_DEP_1) | instskip(SKIP_1) | instid1(VALU_DEP_1)
	v_add_f64_e32 v[44:45], v[48:49], v[44:45]
	v_fma_f64 v[48:49], v[82:83], s[10:11], v[233:234]
	v_add_f64_e32 v[46:47], v[48:49], v[46:47]
	v_fma_f64 v[48:49], v[90:91], s[30:31], -v[235:236]
	s_delay_alu instid0(VALU_DEP_1) | instskip(SKIP_1) | instid1(VALU_DEP_1)
	v_add_f64_e32 v[44:45], v[48:49], v[44:45]
	v_fma_f64 v[48:49], v[92:93], s[30:31], v[237:238]
	v_add_f64_e32 v[46:47], v[48:49], v[46:47]
	v_fma_f64 v[48:49], v[94:95], s[16:17], -v[239:240]
	s_delay_alu instid0(VALU_DEP_1) | instskip(SKIP_1) | instid1(VALU_DEP_1)
	v_add_f64_e32 v[44:45], v[48:49], v[44:45]
	v_fma_f64 v[48:49], v[98:99], s[16:17], v[241:242]
	v_add_f64_e32 v[46:47], v[48:49], v[46:47]
	v_fma_f64 v[48:49], v[104:105], s[4:5], -v[243:244]
	s_delay_alu instid0(VALU_DEP_1) | instskip(SKIP_1) | instid1(VALU_DEP_1)
	v_add_f64_e32 v[44:45], v[48:49], v[44:45]
	v_fma_f64 v[48:49], v[106:107], s[4:5], v[245:246]
	v_add_f64_e32 v[48:49], v[48:49], v[46:47]
	v_fma_f64 v[46:47], v[108:109], s[24:25], -v[247:248]
	s_delay_alu instid0(VALU_DEP_1) | instskip(SKIP_1) | instid1(VALU_DEP_1)
	v_add_f64_e32 v[46:47], v[46:47], v[44:45]
	v_fma_f64 v[44:45], v[110:111], s[24:25], v[249:250]
	v_add_f64_e32 v[44:45], v[44:45], v[48:49]
	v_fma_f64 v[48:49], v[72:73], s[18:19], -v[52:53]
	v_fma_f64 v[52:53], v[72:73], s[18:19], v[52:53]
	s_delay_alu instid0(VALU_DEP_2) | instskip(NEXT) | instid1(VALU_DEP_2)
	v_add_f64_e32 v[48:49], v[48:49], v[166:167]
	v_add_f64_e32 v[52:53], v[52:53], v[158:159]
	s_delay_alu instid0(VALU_DEP_2) | instskip(SKIP_1) | instid1(VALU_DEP_3)
	v_add_f64_e32 v[48:49], v[102:103], v[48:49]
	v_fma_f64 v[102:103], v[78:79], s[4:5], v[100:101]
	v_add_f64_e32 v[52:53], v[60:61], v[52:53]
	v_fma_f64 v[60:61], v[78:79], s[4:5], -v[100:101]
	v_fma_f64 v[100:101], v[110:111], s[26:27], -v[199:200]
	s_delay_alu instid0(VALU_DEP_4) | instskip(SKIP_1) | instid1(VALU_DEP_4)
	v_add_f64_e32 v[50:51], v[102:103], v[50:51]
	v_mul_f64_e32 v[102:103], s[38:39], v[118:119]
	v_add_f64_e32 v[54:55], v[60:61], v[54:55]
	s_delay_alu instid0(VALU_DEP_2) | instskip(SKIP_1) | instid1(VALU_DEP_2)
	v_fma_f64 v[116:117], v[80:81], s[26:27], -v[102:103]
	v_fma_f64 v[60:61], v[80:81], s[26:27], v[102:103]
	v_add_f64_e32 v[48:49], v[116:117], v[48:49]
	v_fma_f64 v[116:117], v[82:83], s[26:27], v[112:113]
	s_delay_alu instid0(VALU_DEP_3) | instskip(SKIP_1) | instid1(VALU_DEP_3)
	v_add_f64_e32 v[52:53], v[60:61], v[52:53]
	v_fma_f64 v[60:61], v[82:83], s[26:27], -v[112:113]
	v_add_f64_e32 v[50:51], v[116:117], v[50:51]
	v_mul_f64_e32 v[116:117], s[14:15], v[124:125]
	s_delay_alu instid0(VALU_DEP_3) | instskip(NEXT) | instid1(VALU_DEP_2)
	v_add_f64_e32 v[54:55], v[60:61], v[54:55]
	v_fma_f64 v[118:119], v[90:91], s[16:17], -v[116:117]
	v_fma_f64 v[60:61], v[90:91], s[16:17], v[116:117]
	s_delay_alu instid0(VALU_DEP_2) | instskip(SKIP_1) | instid1(VALU_DEP_3)
	v_add_f64_e32 v[48:49], v[118:119], v[48:49]
	v_fma_f64 v[118:119], v[92:93], s[16:17], v[114:115]
	v_add_f64_e32 v[52:53], v[60:61], v[52:53]
	v_fma_f64 v[60:61], v[92:93], s[16:17], -v[114:115]
	s_delay_alu instid0(VALU_DEP_3) | instskip(SKIP_1) | instid1(VALU_DEP_3)
	v_add_f64_e32 v[50:51], v[118:119], v[50:51]
	v_mul_f64_e32 v[118:119], s[20:21], v[126:127]
	v_add_f64_e32 v[54:55], v[60:61], v[54:55]
	s_delay_alu instid0(VALU_DEP_2) | instskip(SKIP_1) | instid1(VALU_DEP_2)
	v_fma_f64 v[124:125], v[94:95], s[12:13], -v[118:119]
	v_fma_f64 v[60:61], v[94:95], s[12:13], v[118:119]
	v_add_f64_e32 v[48:49], v[124:125], v[48:49]
	v_fma_f64 v[124:125], v[98:99], s[12:13], v[120:121]
	s_delay_alu instid0(VALU_DEP_3) | instskip(SKIP_1) | instid1(VALU_DEP_3)
	v_add_f64_e32 v[52:53], v[60:61], v[52:53]
	v_fma_f64 v[60:61], v[98:99], s[12:13], -v[120:121]
	v_add_f64_e32 v[50:51], v[124:125], v[50:51]
	v_mul_f64_e32 v[124:125], s[40:41], v[130:131]
	s_delay_alu instid0(VALU_DEP_3) | instskip(SKIP_1) | instid1(VALU_DEP_3)
	v_add_f64_e32 v[54:55], v[60:61], v[54:55]
	v_mul_f64_e32 v[130:131], s[0:1], v[132:133]
	v_fma_f64 v[60:61], v[104:105], s[30:31], v[124:125]
	v_fma_f64 v[126:127], v[104:105], s[30:31], -v[124:125]
	s_delay_alu instid0(VALU_DEP_2) | instskip(SKIP_1) | instid1(VALU_DEP_3)
	v_add_f64_e32 v[52:53], v[60:61], v[52:53]
	v_fma_f64 v[60:61], v[106:107], s[30:31], -v[122:123]
	v_add_f64_e32 v[48:49], v[126:127], v[48:49]
	v_fma_f64 v[126:127], v[106:107], s[30:31], v[122:123]
	s_delay_alu instid0(VALU_DEP_3) | instskip(SKIP_1) | instid1(VALU_DEP_3)
	v_add_f64_e32 v[60:61], v[60:61], v[54:55]
	v_fma_f64 v[54:55], v[108:109], s[10:11], v[130:131]
	v_add_f64_e32 v[126:127], v[126:127], v[50:51]
	v_fma_f64 v[50:51], v[108:109], s[10:11], -v[130:131]
	s_delay_alu instid0(VALU_DEP_3)
	v_add_f64_e32 v[54:55], v[54:55], v[52:53]
	v_add_f64_e32 v[52:53], v[96:97], v[60:61]
	v_fma_f64 v[60:61], v[76:77], s[12:13], v[227:228]
	v_fma_f64 v[96:97], v[110:111], s[12:13], -v[225:226]
	v_add_f64_e32 v[50:51], v[50:51], v[48:49]
	v_fma_f64 v[48:49], v[110:111], s[10:11], v[128:129]
	s_delay_alu instid0(VALU_DEP_4) | instskip(SKIP_1) | instid1(VALU_DEP_3)
	v_add_f64_e32 v[56:57], v[60:61], v[56:57]
	v_fma_f64 v[60:61], v[78:79], s[12:13], -v[229:230]
	v_add_f64_e32 v[48:49], v[48:49], v[126:127]
	s_delay_alu instid0(VALU_DEP_2) | instskip(SKIP_1) | instid1(VALU_DEP_1)
	v_add_f64_e32 v[58:59], v[60:61], v[58:59]
	v_fma_f64 v[60:61], v[80:81], s[10:11], v[231:232]
	v_add_f64_e32 v[56:57], v[60:61], v[56:57]
	v_fma_f64 v[60:61], v[82:83], s[10:11], -v[233:234]
	s_delay_alu instid0(VALU_DEP_1) | instskip(SKIP_1) | instid1(VALU_DEP_1)
	v_add_f64_e32 v[58:59], v[60:61], v[58:59]
	v_fma_f64 v[60:61], v[90:91], s[30:31], v[235:236]
	v_add_f64_e32 v[56:57], v[60:61], v[56:57]
	v_fma_f64 v[60:61], v[92:93], s[30:31], -v[237:238]
	s_delay_alu instid0(VALU_DEP_1) | instskip(SKIP_1) | instid1(VALU_DEP_1)
	;; [unrolled: 5-line block ×4, first 2 shown]
	v_add_f64_e32 v[60:61], v[60:61], v[58:59]
	v_fma_f64 v[58:59], v[108:109], s[24:25], v[247:248]
	v_add_f64_e32 v[58:59], v[58:59], v[56:57]
	s_delay_alu instid0(VALU_DEP_3) | instskip(SKIP_2) | instid1(VALU_DEP_2)
	v_add_f64_e32 v[56:57], v[62:63], v[60:61]
	v_fma_f64 v[60:61], v[72:73], s[30:31], v[201:202]
	v_fma_f64 v[62:63], v[74:75], s[30:31], -v[177:178]
	v_add_f64_e32 v[60:61], v[60:61], v[175:176]
	s_delay_alu instid0(VALU_DEP_2) | instskip(SKIP_1) | instid1(VALU_DEP_1)
	v_add_f64_e32 v[62:63], v[62:63], v[64:65]
	v_fma_f64 v[64:65], v[76:77], s[18:19], v[203:204]
	v_add_f64_e32 v[60:61], v[64:65], v[60:61]
	v_fma_f64 v[64:65], v[78:79], s[18:19], -v[205:206]
	s_delay_alu instid0(VALU_DEP_1) | instskip(SKIP_1) | instid1(VALU_DEP_1)
	v_add_f64_e32 v[62:63], v[64:65], v[62:63]
	v_fma_f64 v[64:65], v[80:81], s[4:5], v[207:208]
	v_add_f64_e32 v[60:61], v[64:65], v[60:61]
	v_fma_f64 v[64:65], v[82:83], s[4:5], -v[209:210]
	s_delay_alu instid0(VALU_DEP_1) | instskip(SKIP_1) | instid1(VALU_DEP_1)
	;; [unrolled: 5-line block ×5, first 2 shown]
	v_add_f64_e32 v[64:65], v[64:65], v[62:63]
	v_fma_f64 v[62:63], v[108:109], s[12:13], v[223:224]
	v_add_f64_e32 v[62:63], v[62:63], v[60:61]
	s_delay_alu instid0(VALU_DEP_3) | instskip(SKIP_3) | instid1(VALU_DEP_3)
	v_add_f64_e32 v[60:61], v[96:97], v[64:65]
	v_fma_f64 v[64:65], v[72:73], s[24:25], v[160:161]
	v_fma_f64 v[96:97], v[74:75], s[24:25], -v[162:163]
	v_fma_f64 v[72:73], v[76:77], s[24:25], v[134:135]
	v_add_f64_e32 v[64:65], v[64:65], v[179:180]
	s_delay_alu instid0(VALU_DEP_3) | instskip(SKIP_1) | instid1(VALU_DEP_4)
	v_add_f64_e32 v[66:67], v[96:97], v[66:67]
	v_fma_f64 v[96:97], v[76:77], s[30:31], v[164:165]
	v_add_f64_e32 v[18:19], v[72:73], v[18:19]
	v_fma_f64 v[72:73], v[82:83], s[30:31], -v[140:141]
	s_delay_alu instid0(VALU_DEP_3) | instskip(SKIP_1) | instid1(VALU_DEP_4)
	v_add_f64_e32 v[64:65], v[96:97], v[64:65]
	v_fma_f64 v[96:97], v[78:79], s[30:31], -v[168:169]
	v_add_f64_e32 v[18:19], v[70:71], v[18:19]
	v_fma_f64 v[70:71], v[92:93], s[26:27], -v[144:145]
	v_add_f64_e32 v[16:17], v[72:73], v[16:17]
	v_fma_f64 v[72:73], v[94:95], s[18:19], v[146:147]
	v_add_f64_e32 v[66:67], v[96:97], v[66:67]
	v_fma_f64 v[96:97], v[80:81], s[18:19], v[181:182]
	v_add_f64_e32 v[18:19], v[68:69], v[18:19]
	v_fma_f64 v[68:69], v[98:99], s[18:19], -v[148:149]
	v_add_f64_e32 v[16:17], v[70:71], v[16:17]
	v_fma_f64 v[70:71], v[104:105], s[10:11], v[150:151]
	v_add_f64_e32 v[64:65], v[96:97], v[64:65]
	v_fma_f64 v[96:97], v[82:83], s[18:19], -v[183:184]
	v_add_f64_e32 v[18:19], v[72:73], v[18:19]
	v_fma_f64 v[72:73], v[106:107], s[10:11], -v[152:153]
	v_add_f64_e32 v[16:17], v[68:69], v[16:17]
	v_fma_f64 v[68:69], v[108:109], s[4:5], v[154:155]
	v_add_f64_e32 v[66:67], v[96:97], v[66:67]
	v_fma_f64 v[96:97], v[90:91], s[12:13], v[185:186]
	v_add_f64_e32 v[18:19], v[70:71], v[18:19]
	v_fma_f64 v[70:71], v[110:111], s[4:5], -v[156:157]
	v_add_f64_e32 v[16:17], v[72:73], v[16:17]
	s_delay_alu instid0(VALU_DEP_4) | instskip(SKIP_2) | instid1(VALU_DEP_4)
	v_add_f64_e32 v[64:65], v[96:97], v[64:65]
	v_fma_f64 v[96:97], v[92:93], s[12:13], -v[187:188]
	v_add_f64_e32 v[18:19], v[68:69], v[18:19]
	v_add_f64_e32 v[16:17], v[70:71], v[16:17]
	v_lshl_add_u32 v68, v86, 8, v174
	s_delay_alu instid0(VALU_DEP_4) | instskip(SKIP_1) | instid1(VALU_DEP_1)
	v_add_f64_e32 v[66:67], v[96:97], v[66:67]
	v_fma_f64 v[96:97], v[94:95], s[4:5], v[189:190]
	v_add_f64_e32 v[64:65], v[96:97], v[64:65]
	v_fma_f64 v[96:97], v[98:99], s[4:5], -v[191:192]
	s_delay_alu instid0(VALU_DEP_1) | instskip(SKIP_1) | instid1(VALU_DEP_1)
	v_add_f64_e32 v[66:67], v[96:97], v[66:67]
	v_fma_f64 v[96:97], v[104:105], s[16:17], v[193:194]
	v_add_f64_e32 v[64:65], v[96:97], v[64:65]
	v_fma_f64 v[96:97], v[106:107], s[16:17], -v[195:196]
	s_delay_alu instid0(VALU_DEP_1) | instskip(SKIP_1) | instid1(VALU_DEP_1)
	v_add_f64_e32 v[96:97], v[96:97], v[66:67]
	v_fma_f64 v[66:67], v[108:109], s[26:27], v[197:198]
	v_add_f64_e32 v[66:67], v[66:67], v[64:65]
	s_delay_alu instid0(VALU_DEP_3)
	v_add_f64_e32 v[64:65], v[100:101], v[96:97]
	ds_store_b128 v68, v[8:11]
	ds_store_b128 v68, v[28:31] offset:16
	ds_store_b128 v68, v[32:35] offset:32
	ds_store_b128 v68, v[36:39] offset:48
	ds_store_b128 v68, v[40:43] offset:64
	ds_store_b128 v68, v[44:47] offset:80
	ds_store_b128 v68, v[48:51] offset:96
	ds_store_b128 v68, v[24:27] offset:112
	ds_store_b128 v68, v[12:15] offset:128
	ds_store_b128 v68, v[4:7] offset:144
	ds_store_b128 v68, v[20:23] offset:160
	ds_store_b128 v68, v[52:55] offset:176
	ds_store_b128 v68, v[56:59] offset:192
	ds_store_b128 v68, v[60:63] offset:208
	ds_store_b128 v68, v[64:67] offset:224
	ds_store_b128 v68, v[16:19] offset:240
	ds_store_b128 v68, v[0:3] offset:256
.LBB0_15:
	s_or_b32 exec_lo, exec_lo, s33
	v_add_nc_u16 v91, v86, 0x77
	v_add_nc_u32_e32 v87, 0xee, v86
	v_and_b32_e32 v4, 0xff, v86
	v_add_nc_u32_e32 v21, 0x165, v86
	v_add_nc_u32_e32 v22, 0x1dc, v86
	v_and_b32_e32 v92, 0xff, v91
	v_and_b32_e32 v5, 0xffff, v87
	v_mul_lo_u16 v42, 0xf1, v4
	v_add_nc_u32_e32 v23, 0x253, v86
	v_and_b32_e32 v7, 0xffff, v21
	v_mul_lo_u16 v37, 0xf1, v92
	v_add_nc_u32_e32 v24, 0x2ca, v86
	v_and_b32_e32 v8, 0xffff, v22
	v_mul_u32_u24_e32 v90, 0xf0f1, v5
	v_add_nc_u32_e32 v20, 0x341, v86
	v_lshrrev_b16 v43, 12, v42
	v_and_b32_e32 v12, 0xffff, v23
	v_mul_u32_u24_e32 v47, 0xf0f1, v7
	v_lshrrev_b16 v26, 12, v37
	v_and_b32_e32 v13, 0xffff, v24
	v_mul_u32_u24_e32 v45, 0xf0f1, v8
	v_lshrrev_b32_e32 v25, 20, v90
	v_and_b32_e32 v14, 0xffff, v20
	v_mul_lo_u16 v4, v43, 17
	v_lshrrev_b32_e32 v35, 20, v47
	v_mul_u32_u24_e32 v46, 0xf0f1, v12
	v_mul_lo_u16 v5, v26, 17
	v_lshrrev_b32_e32 v36, 20, v45
	v_mul_u32_u24_e32 v44, 0xf0f1, v13
	v_mul_lo_u16 v6, v25, 17
	v_mul_u32_u24_e32 v41, 0xf0f1, v14
	v_sub_nc_u16 v4, v86, v4
	v_mul_lo_u16 v12, v35, 17
	v_lshrrev_b32_e32 v38, 20, v46
	v_sub_nc_u16 v5, v91, v5
	v_mul_lo_u16 v13, v36, 17
	v_lshrrev_b32_e32 v39, 20, v44
	v_sub_nc_u16 v6, v87, v6
	v_lshrrev_b32_e32 v40, 20, v41
	v_and_b32_e32 v4, 0xff, v4
	v_sub_nc_u16 v12, v21, v12
	v_mul_lo_u16 v14, v38, 17
	v_and_b32_e32 v5, 0xff, v5
	v_sub_nc_u16 v13, v22, v13
	v_mul_lo_u16 v15, v39, 17
	v_and_b32_e32 v6, 0xffff, v6
	v_mul_lo_u16 v16, v40, 17
	v_lshlrev_b32_e32 v29, 4, v4
	v_and_b32_e32 v12, 0xffff, v12
	v_sub_nc_u16 v14, v23, v14
	v_lshlrev_b32_e32 v27, 4, v5
	v_and_b32_e32 v13, 0xffff, v13
	v_sub_nc_u16 v15, v24, v15
	v_lshlrev_b32_e32 v28, 4, v6
	v_sub_nc_u16 v16, v20, v16
	s_load_b64 s[2:3], s[2:3], 0x0
	global_wb scope:SCOPE_SE
	s_wait_dscnt 0x0
	s_wait_kmcnt 0x0
	s_barrier_signal -1
	s_barrier_wait -1
	global_inv scope:SCOPE_SE
	s_clause 0x1
	global_load_b128 v[4:7], v29, s[8:9]
	global_load_b128 v[8:11], v27, s[8:9]
	v_lshlrev_b32_e32 v30, 4, v12
	v_and_b32_e32 v17, 0xffff, v14
	v_lshlrev_b32_e32 v31, 4, v13
	v_and_b32_e32 v33, 0xffff, v15
	v_and_b32_e32 v34, 0xffff, v16
	global_load_b128 v[12:15], v28, s[8:9]
	v_lshlrev_b32_e32 v32, 4, v17
	global_load_b128 v[16:19], v30, s[8:9]
	v_lshlrev_b32_e32 v33, 4, v33
	;; [unrolled: 2-line block ×3, first 2 shown]
	s_clause 0x2
	global_load_b128 v[52:55], v32, s[8:9]
	global_load_b128 v[56:59], v33, s[8:9]
	global_load_b128 v[60:63], v34, s[8:9]
	ds_load_b128 v[64:67], v174 offset:15232
	ds_load_b128 v[68:71], v174 offset:17136
	;; [unrolled: 1-line block ×8, first 2 shown]
	v_and_b32_e32 v26, 0xffff, v26
	v_mul_u32_u24_e32 v25, 0x220, v25
	v_mul_u32_u24_e32 v39, 0x220, v39
	;; [unrolled: 1-line block ×3, first 2 shown]
	v_cmp_gt_u32_e64 s0, 34, v86
	v_mul_u32_u24_e32 v26, 0x220, v26
	v_add3_u32 v25, 0, v25, v28
	s_delay_alu instid0(VALU_DEP_2)
	v_add3_u32 v26, 0, v26, v27
	s_wait_loadcnt_dscnt 0x707
	v_mul_f64_e32 v[105:106], v[66:67], v[6:7]
	v_mul_f64_e32 v[6:7], v[64:65], v[6:7]
	s_wait_loadcnt_dscnt 0x606
	v_mul_f64_e32 v[107:108], v[70:71], v[10:11]
	v_mul_f64_e32 v[10:11], v[68:69], v[10:11]
	;; [unrolled: 3-line block ×8, first 2 shown]
	v_fma_f64 v[64:65], v[64:65], v[4:5], v[105:106]
	v_fma_f64 v[66:67], v[66:67], v[4:5], -v[6:7]
	v_fma_f64 v[68:69], v[68:69], v[8:9], v[107:108]
	v_fma_f64 v[70:71], v[70:71], v[8:9], -v[10:11]
	v_lshrrev_b16 v105, 13, v42
	v_and_b32_e32 v42, 0xffff, v43
	v_lshrrev_b16 v107, 13, v37
	v_fma_f64 v[72:73], v[72:73], v[12:13], v[109:110]
	v_fma_f64 v[74:75], v[74:75], v[12:13], -v[14:15]
	v_fma_f64 v[76:77], v[76:77], v[16:17], v[111:112]
	v_fma_f64 v[78:79], v[78:79], v[16:17], -v[18:19]
	;; [unrolled: 2-line block ×6, first 2 shown]
	ds_load_b128 v[16:19], v174
	ds_load_b128 v[12:15], v174 offset:1904
	ds_load_b128 v[8:11], v174 offset:3808
	;; [unrolled: 1-line block ×7, first 2 shown]
	v_lshrrev_b32_e32 v112, 21, v44
	v_lshrrev_b32_e32 v113, 21, v41
	v_mul_u32_u24_e32 v114, 0x220, v42
	v_lshrrev_b32_e32 v109, 21, v47
	v_lshrrev_b32_e32 v110, 21, v45
	v_lshrrev_b32_e32 v111, 21, v46
	v_mul_lo_u16 v106, v105, 34
	v_lshrrev_b32_e32 v108, 21, v90
	v_mul_lo_u16 v47, v112, 34
	v_mul_lo_u16 v45, v110, 34
	;; [unrolled: 1-line block ×3, first 2 shown]
	global_wb scope:SCOPE_SE
	s_wait_dscnt 0x0
	v_mul_lo_u16 v37, v108, 34
	v_sub_nc_u16 v120, v24, v47
	v_sub_nc_u16 v118, v22, v45
	;; [unrolled: 1-line block ×3, first 2 shown]
	s_barrier_signal -1
	v_add_f64_e64 v[41:42], v[16:17], -v[64:65]
	v_add_f64_e64 v[43:44], v[18:19], -v[66:67]
	;; [unrolled: 1-line block ×4, first 2 shown]
	v_sub_nc_u16 v116, v87, v37
	s_barrier_wait -1
	global_inv scope:SCOPE_SE
	v_add_f64_e64 v[68:69], v[8:9], -v[72:73]
	v_add_f64_e64 v[70:71], v[10:11], -v[74:75]
	;; [unrolled: 1-line block ×12, first 2 shown]
	v_mul_u32_u24_e32 v103, 0x220, v38
	v_mul_lo_u16 v38, v109, 34
	v_mul_u32_u24_e32 v101, 0x220, v35
	v_mul_u32_u24_e32 v102, 0x220, v36
	v_sub_nc_u16 v35, v86, v106
	v_mul_lo_u16 v36, v107, 34
	v_sub_nc_u16 v117, v21, v38
	v_mul_lo_u16 v104, v113, 34
	v_add3_u32 v27, 0, v101, v30
	v_and_b32_e32 v106, 0xff, v35
	v_sub_nc_u16 v115, v91, v36
	v_add3_u32 v28, 0, v102, v31
	v_sub_nc_u16 v20, v20, v104
	v_add3_u32 v30, 0, v39, v33
	v_lshlrev_b32_e32 v106, 4, v106
	v_add3_u32 v31, 0, v40, v34
	v_fma_f64 v[16:17], v[16:17], 2.0, -v[41:42]
	v_fma_f64 v[18:19], v[18:19], 2.0, -v[43:44]
	;; [unrolled: 1-line block ×16, first 2 shown]
	v_and_b32_e32 v53, 0xff, v115
	v_and_b32_e32 v54, 0xffff, v116
	;; [unrolled: 1-line block ×3, first 2 shown]
	v_add3_u32 v20, 0, v114, v29
	v_and_b32_e32 v55, 0xffff, v117
	v_lshlrev_b32_e32 v114, 4, v53
	v_and_b32_e32 v56, 0xffff, v118
	v_lshlrev_b32_e32 v115, 4, v54
	v_add3_u32 v29, 0, v103, v32
	ds_store_b128 v20, v[16:19]
	ds_store_b128 v20, v[41:44] offset:272
	ds_store_b128 v26, v[12:15]
	ds_store_b128 v26, v[64:67] offset:272
	;; [unrolled: 2-line block ×8, first 2 shown]
	global_wb scope:SCOPE_SE
	s_wait_dscnt 0x0
	s_barrier_signal -1
	s_barrier_wait -1
	global_inv scope:SCOPE_SE
	s_clause 0x1
	global_load_b128 v[4:7], v106, s[8:9] offset:272
	global_load_b128 v[8:11], v114, s[8:9] offset:272
	v_lshlrev_b32_e32 v116, 4, v55
	v_and_b32_e32 v57, 0xffff, v119
	v_and_b32_e32 v58, 0xffff, v120
	v_lshlrev_b32_e32 v117, 4, v56
	s_clause 0x1
	global_load_b128 v[12:15], v115, s[8:9] offset:272
	global_load_b128 v[16:19], v116, s[8:9] offset:272
	v_lshlrev_b32_e32 v118, 4, v57
	v_lshlrev_b32_e32 v119, 4, v58
	global_load_b128 v[20:23], v117, s[8:9] offset:272
	v_lshlrev_b32_e32 v120, 4, v59
	s_clause 0x2
	global_load_b128 v[24:27], v118, s[8:9] offset:272
	global_load_b128 v[28:31], v119, s[8:9] offset:272
	;; [unrolled: 1-line block ×3, first 2 shown]
	ds_load_b128 v[36:39], v174 offset:15232
	ds_load_b128 v[40:43], v174 offset:17136
	;; [unrolled: 1-line block ×8, first 2 shown]
	s_wait_loadcnt_dscnt 0x707
	v_mul_f64_e32 v[68:69], v[38:39], v[6:7]
	v_mul_f64_e32 v[6:7], v[36:37], v[6:7]
	s_wait_loadcnt_dscnt 0x606
	v_mul_f64_e32 v[70:71], v[42:43], v[10:11]
	v_mul_f64_e32 v[10:11], v[40:41], v[10:11]
	;; [unrolled: 3-line block ×8, first 2 shown]
	v_fma_f64 v[68:69], v[36:37], v[4:5], v[68:69]
	v_fma_f64 v[93:94], v[38:39], v[4:5], -v[6:7]
	v_fma_f64 v[70:71], v[40:41], v[8:9], v[70:71]
	v_fma_f64 v[8:9], v[42:43], v[8:9], -v[10:11]
	;; [unrolled: 2-line block ×8, first 2 shown]
	ds_load_b128 v[4:7], v174
	ds_load_b128 v[12:15], v174 offset:1904
	ds_load_b128 v[16:19], v174 offset:3808
	;; [unrolled: 1-line block ×7, first 2 shown]
	global_wb scope:SCOPE_SE
	s_wait_dscnt 0x0
	s_barrier_signal -1
	s_barrier_wait -1
	global_inv scope:SCOPE_SE
	v_add_f64_e64 v[40:41], v[4:5], -v[68:69]
	v_add_f64_e64 v[42:43], v[6:7], -v[93:94]
	;; [unrolled: 1-line block ×16, first 2 shown]
	v_and_b32_e32 v72, 0xffff, v105
	v_mul_u32_u24_e32 v73, 0x440, v111
	v_mul_u32_u24_e32 v74, 0x440, v112
	;; [unrolled: 1-line block ×3, first 2 shown]
	s_delay_alu instid0(VALU_DEP_3) | instskip(NEXT) | instid1(VALU_DEP_3)
	v_add3_u32 v73, 0, v73, v118
	v_add3_u32 v74, 0, v74, v119
	s_delay_alu instid0(VALU_DEP_3)
	v_add3_u32 v75, 0, v75, v120
	v_fma_f64 v[68:69], v[4:5], 2.0, -v[40:41]
	v_fma_f64 v[70:71], v[6:7], 2.0, -v[42:43]
	;; [unrolled: 1-line block ×16, first 2 shown]
	v_and_b32_e32 v36, 0xffff, v107
	v_mul_u32_u24_e32 v37, 0x440, v72
	v_mul_u32_u24_e32 v38, 0x440, v108
	;; [unrolled: 1-line block ×5, first 2 shown]
	v_add3_u32 v37, 0, v37, v106
	v_add3_u32 v38, 0, v38, v115
	v_add3_u32 v39, 0, v39, v116
	v_add3_u32 v72, 0, v72, v117
	v_add3_u32 v36, 0, v36, v114
	ds_store_b128 v37, v[68:71]
	ds_store_b128 v37, v[40:43] offset:544
	ds_store_b128 v36, v[12:15]
	ds_store_b128 v36, v[44:47] offset:544
	;; [unrolled: 2-line block ×8, first 2 shown]
	global_wb scope:SCOPE_SE
	s_wait_dscnt 0x0
	s_barrier_signal -1
	s_barrier_wait -1
	global_inv scope:SCOPE_SE
	ds_load_b128 v[32:35], v174
	ds_load_b128 v[28:31], v174 offset:1904
	ds_load_b128 v[68:71], v174 offset:4352
	;; [unrolled: 1-line block ×13, first 2 shown]
                                        ; implicit-def: $vgpr26_vgpr27
                                        ; implicit-def: $vgpr22_vgpr23
                                        ; implicit-def: $vgpr18_vgpr19
                                        ; implicit-def: $vgpr14_vgpr15
	s_and_saveexec_b32 s1, s0
	s_cbranch_execz .LBB0_17
; %bb.16:
	ds_load_b128 v[4:7], v174 offset:3808
	ds_load_b128 v[8:11], v174 offset:8160
	;; [unrolled: 1-line block ×7, first 2 shown]
.LBB0_17:
	s_wait_alu 0xfffe
	s_or_b32 exec_lo, exec_lo, s1
	v_add_nc_u32_e32 v93, 0xffffffbc, v86
	v_mul_lo_u16 v94, 0x79, v92
	v_cmp_gt_u32_e64 s1, 0x44, v86
	s_mov_b32 s12, 0x37e14327
	s_mov_b32 s16, 0xe976ee23
	;; [unrolled: 1-line block ×4, first 2 shown]
	s_wait_alu 0xf1ff
	v_cndmask_b32_e64 v92, v93, v86, s1
	v_lshrrev_b16 v93, 13, v94
	s_mov_b32 s4, 0x429ad128
	s_mov_b32 s10, 0x36b3c0b5
	s_mov_b32 s5, 0xbfebfeb5
	v_mul_i32_i24_e32 v94, 6, v92
	v_mul_lo_u16 v96, 0x44, v93
	s_mov_b32 s11, 0x3fac98ee
	s_mov_b32 s14, 0xaaaaaaaa
	;; [unrolled: 1-line block ×4, first 2 shown]
	v_sub_nc_u16 v91, v91, v96
	s_mov_b32 s18, 0x5476071b
	s_mov_b32 s23, 0xbfd5d0dc
	;; [unrolled: 1-line block ×4, first 2 shown]
	v_and_b32_e32 v91, 0xff, v91
	s_mov_b32 s25, 0x3fd5d0dc
	s_wait_alu 0xfffe
	s_mov_b32 s20, s18
	s_mov_b32 s24, s22
	;; [unrolled: 1-line block ×3, first 2 shown]
	v_mul_u32_u24_e32 v110, 6, v91
	v_mov_b32_e32 v95, 0
	s_mov_b32 s27, 0xbfdc38aa
	v_and_b32_e32 v93, 0xffff, v93
	v_lshlrev_b32_e32 v92, 4, v92
	v_lshlrev_b32_e32 v138, 4, v110
	v_lshlrev_b64_e32 v[94:95], 4, v[94:95]
	v_lshlrev_b32_e32 v91, 4, v91
	v_mul_u32_u24_e32 v93, 0x1dc0, v93
	s_delay_alu instid0(VALU_DEP_3) | instskip(SKIP_1) | instid1(VALU_DEP_4)
	v_add_co_u32 v130, s1, s8, v94
	s_wait_alu 0xf1ff
	v_add_co_ci_u32_e64 v131, s1, s9, v95, s1
	s_clause 0xb
	global_load_b128 v[94:97], v[130:131], off offset:816
	global_load_b128 v[98:101], v[130:131], off offset:832
	global_load_b128 v[102:105], v[130:131], off offset:896
	global_load_b128 v[106:109], v[130:131], off offset:880
	global_load_b128 v[110:113], v138, s[8:9] offset:816
	global_load_b128 v[114:117], v138, s[8:9] offset:832
	global_load_b128 v[118:121], v138, s[8:9] offset:896
	global_load_b128 v[122:125], v138, s[8:9] offset:880
	global_load_b128 v[126:129], v[130:131], off offset:848
	global_load_b128 v[130:133], v[130:131], off offset:864
	global_load_b128 v[134:137], v138, s[8:9] offset:848
	global_load_b128 v[138:141], v138, s[8:9] offset:864
	v_cmp_lt_u32_e64 s1, 0x43, v86
	v_add3_u32 v91, 0, v93, v91
	global_wb scope:SCOPE_SE
	s_wait_loadcnt_dscnt 0x0
	s_barrier_signal -1
	s_barrier_wait -1
	global_inv scope:SCOPE_SE
	v_mul_f64_e32 v[150:151], v[54:55], v[112:113]
	v_mul_f64_e32 v[112:113], v[52:53], v[112:113]
	v_mul_f64_e32 v[152:153], v[58:59], v[116:117]
	v_mul_f64_e32 v[116:117], v[56:57], v[116:117]
	v_mul_f64_e32 v[142:143], v[70:71], v[96:97]
	v_mul_f64_e32 v[96:97], v[68:69], v[96:97]
	v_mul_f64_e32 v[144:145], v[74:75], v[100:101]
	v_mul_f64_e32 v[100:101], v[72:73], v[100:101]
	v_mul_f64_e32 v[146:147], v[82:83], v[104:105]
	v_mul_f64_e32 v[104:105], v[80:81], v[104:105]
	v_mul_f64_e32 v[148:149], v[78:79], v[108:109]
	v_mul_f64_e32 v[108:109], v[76:77], v[108:109]
	v_mul_f64_e32 v[154:155], v[66:67], v[120:121]
	v_mul_f64_e32 v[120:121], v[64:65], v[120:121]
	v_mul_f64_e32 v[156:157], v[62:63], v[124:125]
	v_mul_f64_e32 v[124:125], v[60:61], v[124:125]
	v_mul_f64_e32 v[158:159], v[46:47], v[128:129]
	v_mul_f64_e32 v[128:129], v[44:45], v[128:129]
	v_mul_f64_e32 v[160:161], v[50:51], v[132:133]
	v_mul_f64_e32 v[132:133], v[48:49], v[132:133]
	v_fma_f64 v[52:53], v[52:53], v[110:111], v[150:151]
	v_fma_f64 v[54:55], v[54:55], v[110:111], -v[112:113]
	v_fma_f64 v[56:57], v[56:57], v[114:115], v[152:153]
	v_fma_f64 v[58:59], v[58:59], v[114:115], -v[116:117]
	;; [unrolled: 2-line block ×6, first 2 shown]
	v_mul_f64_e32 v[94:95], v[38:39], v[136:137]
	v_mul_f64_e32 v[96:97], v[36:37], v[136:137]
	;; [unrolled: 1-line block ×4, first 2 shown]
	v_fma_f64 v[64:65], v[64:65], v[118:119], v[154:155]
	v_fma_f64 v[66:67], v[66:67], v[118:119], -v[120:121]
	v_fma_f64 v[60:61], v[60:61], v[122:123], v[156:157]
	v_fma_f64 v[62:63], v[62:63], v[122:123], -v[124:125]
	;; [unrolled: 2-line block ×4, first 2 shown]
	v_add_f64_e32 v[102:103], v[68:69], v[80:81]
	v_add_f64_e32 v[104:105], v[70:71], v[82:83]
	v_add_f64_e32 v[106:107], v[72:73], v[76:77]
	v_add_f64_e32 v[108:109], v[74:75], v[78:79]
	v_fma_f64 v[36:37], v[36:37], v[134:135], v[94:95]
	v_fma_f64 v[38:39], v[38:39], v[134:135], -v[96:97]
	v_fma_f64 v[40:41], v[40:41], v[138:139], v[98:99]
	v_fma_f64 v[42:43], v[42:43], v[138:139], -v[100:101]
	v_add_f64_e32 v[94:95], v[52:53], v[64:65]
	v_add_f64_e32 v[96:97], v[54:55], v[66:67]
	;; [unrolled: 1-line block ×4, first 2 shown]
	v_add_f64_e64 v[72:73], v[72:73], -v[76:77]
	v_add_f64_e64 v[74:75], v[74:75], -v[78:79]
	v_add_f64_e32 v[110:111], v[44:45], v[48:49]
	v_add_f64_e32 v[112:113], v[46:47], v[50:51]
	v_add_f64_e64 v[44:45], v[48:49], -v[44:45]
	v_add_f64_e64 v[46:47], v[50:51], -v[46:47]
	;; [unrolled: 1-line block ×6, first 2 shown]
	v_add_f64_e32 v[68:69], v[106:107], v[102:103]
	v_add_f64_e32 v[70:71], v[108:109], v[104:105]
	;; [unrolled: 1-line block ×4, first 2 shown]
	v_add_f64_e64 v[36:37], v[40:41], -v[36:37]
	v_add_f64_e64 v[38:39], v[42:43], -v[38:39]
	;; [unrolled: 1-line block ×4, first 2 shown]
	v_add_f64_e32 v[52:53], v[98:99], v[94:95]
	v_add_f64_e32 v[54:55], v[100:101], v[96:97]
	v_add_f64_e64 v[64:65], v[102:103], -v[110:111]
	v_add_f64_e64 v[66:67], v[104:105], -v[112:113]
	v_add_f64_e64 v[80:81], v[44:45], -v[72:73]
	v_add_f64_e64 v[82:83], v[46:47], -v[74:75]
	v_add_f64_e64 v[114:115], v[72:73], -v[48:49]
	v_add_f64_e64 v[116:117], v[74:75], -v[50:51]
	v_add_f64_e64 v[76:77], v[110:111], -v[106:107]
	v_add_f64_e64 v[78:79], v[112:113], -v[108:109]
	v_add_f64_e32 v[72:73], v[44:45], v[72:73]
	v_add_f64_e32 v[74:75], v[46:47], v[74:75]
	v_add_f64_e64 v[44:45], v[48:49], -v[44:45]
	v_add_f64_e64 v[46:47], v[50:51], -v[46:47]
	;; [unrolled: 1-line block ×4, first 2 shown]
	v_add_f64_e32 v[68:69], v[110:111], v[68:69]
	v_add_f64_e32 v[70:71], v[112:113], v[70:71]
	v_add_f64_e64 v[110:111], v[94:95], -v[60:61]
	v_add_f64_e64 v[112:113], v[96:97], -v[62:63]
	;; [unrolled: 1-line block ×6, first 2 shown]
	v_add_f64_e32 v[52:53], v[60:61], v[52:53]
	v_add_f64_e32 v[54:55], v[62:63], v[54:55]
	v_add_f64_e64 v[60:61], v[60:61], -v[98:99]
	v_add_f64_e64 v[62:63], v[62:63], -v[100:101]
	v_add_f64_e32 v[56:57], v[36:37], v[56:57]
	v_add_f64_e32 v[58:59], v[38:39], v[58:59]
	v_mul_f64_e32 v[64:65], s[12:13], v[64:65]
	v_mul_f64_e32 v[66:67], s[12:13], v[66:67]
	;; [unrolled: 1-line block ×8, first 2 shown]
	v_add_f64_e64 v[36:37], v[40:41], -v[36:37]
	v_add_f64_e64 v[38:39], v[42:43], -v[38:39]
	;; [unrolled: 1-line block ×4, first 2 shown]
	v_add_f64_e32 v[48:49], v[72:73], v[48:49]
	v_add_f64_e32 v[50:51], v[74:75], v[50:51]
	;; [unrolled: 1-line block ×4, first 2 shown]
	v_mul_f64_e32 v[110:111], s[12:13], v[110:111]
	v_mul_f64_e32 v[112:113], s[12:13], v[112:113]
	;; [unrolled: 1-line block ×6, first 2 shown]
	v_add_f64_e32 v[28:29], v[28:29], v[52:53]
	v_add_f64_e32 v[30:31], v[30:31], v[54:55]
	v_mul_f64_e32 v[98:99], s[10:11], v[60:61]
	v_mul_f64_e32 v[100:101], s[10:11], v[62:63]
	v_add_f64_e32 v[40:41], v[56:57], v[40:41]
	v_add_f64_e32 v[42:43], v[58:59], v[42:43]
	v_fma_f64 v[56:57], v[76:77], s[10:11], v[64:65]
	v_fma_f64 v[58:59], v[78:79], s[10:11], v[66:67]
	;; [unrolled: 1-line block ×4, first 2 shown]
	s_wait_alu 0xfffe
	v_fma_f64 v[44:45], v[44:45], s[24:25], -v[126:127]
	v_fma_f64 v[46:47], v[46:47], s[24:25], -v[128:129]
	;; [unrolled: 1-line block ×8, first 2 shown]
	v_fma_f64 v[68:69], v[68:69], s[14:15], v[32:33]
	v_fma_f64 v[70:71], v[70:71], s[14:15], v[34:35]
	;; [unrolled: 1-line block ×6, first 2 shown]
	v_fma_f64 v[106:107], v[122:123], s[4:5], -v[118:119]
	v_fma_f64 v[108:109], v[124:125], s[4:5], -v[120:121]
	v_fma_f64 v[52:53], v[52:53], s[14:15], v[28:29]
	v_fma_f64 v[54:55], v[54:55], s[14:15], v[30:31]
	v_fma_f64 v[36:37], v[36:37], s[24:25], -v[130:131]
	v_fma_f64 v[38:39], v[38:39], s[24:25], -v[132:133]
	;; [unrolled: 1-line block ×6, first 2 shown]
	v_fma_f64 v[76:77], v[48:49], s[26:27], v[76:77]
	v_fma_f64 v[78:79], v[50:51], s[26:27], v[78:79]
	;; [unrolled: 1-line block ×6, first 2 shown]
	v_add_f64_e32 v[56:57], v[56:57], v[68:69]
	v_add_f64_e32 v[58:59], v[58:59], v[70:71]
	;; [unrolled: 1-line block ×6, first 2 shown]
	v_fma_f64 v[102:103], v[40:41], s[26:27], v[102:103]
	v_fma_f64 v[104:105], v[42:43], s[26:27], v[104:105]
	;; [unrolled: 1-line block ×4, first 2 shown]
	v_add_f64_e32 v[114:115], v[60:61], v[52:53]
	v_add_f64_e32 v[116:117], v[62:63], v[54:55]
	v_fma_f64 v[106:107], v[40:41], s[26:27], v[36:37]
	v_fma_f64 v[108:109], v[42:43], s[26:27], v[38:39]
	v_add_f64_e32 v[110:111], v[110:111], v[52:53]
	v_add_f64_e32 v[112:113], v[112:113], v[54:55]
	;; [unrolled: 1-line block ×5, first 2 shown]
	v_add_f64_e64 v[38:39], v[58:59], -v[76:77]
	v_add_f64_e32 v[40:41], v[100:101], v[64:65]
	v_add_f64_e64 v[42:43], v[66:67], -v[98:99]
	v_add_f64_e64 v[44:45], v[48:49], -v[82:83]
	v_add_f64_e32 v[46:47], v[80:81], v[50:51]
	v_add_f64_e32 v[48:49], v[82:83], v[48:49]
	v_add_f64_e64 v[50:51], v[50:51], -v[80:81]
	v_add_f64_e64 v[52:53], v[64:65], -v[100:101]
	v_add_f64_e32 v[54:55], v[98:99], v[66:67]
	v_add_f64_e64 v[56:57], v[56:57], -v[78:79]
	v_add_f64_e32 v[58:59], v[76:77], v[58:59]
	v_add_f64_e32 v[60:61], v[104:105], v[114:115]
	v_add_f64_e64 v[62:63], v[116:117], -v[102:103]
	v_add_f64_e32 v[64:65], v[108:109], v[110:111]
	v_add_f64_e64 v[66:67], v[112:113], -v[106:107]
	v_add_f64_e64 v[68:69], v[94:95], -v[72:73]
	v_add_f64_e32 v[70:71], v[74:75], v[96:97]
	v_add_f64_e32 v[72:73], v[72:73], v[94:95]
	v_add_f64_e64 v[74:75], v[96:97], -v[74:75]
	v_add_f64_e64 v[76:77], v[110:111], -v[108:109]
	v_add_f64_e32 v[78:79], v[106:107], v[112:113]
	v_add_f64_e64 v[80:81], v[114:115], -v[104:105]
	v_add_f64_e32 v[82:83], v[102:103], v[116:117]
	s_wait_alu 0xf1ff
	v_cndmask_b32_e64 v94, 0, 0x1dc0, s1
	s_delay_alu instid0(VALU_DEP_1)
	v_add3_u32 v92, 0, v94, v92
	ds_store_b128 v92, v[32:35]
	ds_store_b128 v92, v[36:39] offset:1088
	ds_store_b128 v92, v[40:43] offset:2176
	;; [unrolled: 1-line block ×6, first 2 shown]
	ds_store_b128 v91, v[28:31]
	ds_store_b128 v91, v[60:63] offset:1088
	ds_store_b128 v91, v[64:67] offset:2176
	;; [unrolled: 1-line block ×6, first 2 shown]
	s_and_saveexec_b32 s1, s0
	s_cbranch_execz .LBB0_19
; %bb.18:
	v_lshrrev_b32_e32 v28, 22, v90
	s_delay_alu instid0(VALU_DEP_1) | instskip(NEXT) | instid1(VALU_DEP_1)
	v_mul_lo_u16 v28, 0x44, v28
	v_sub_nc_u16 v28, v87, v28
	s_delay_alu instid0(VALU_DEP_1) | instskip(NEXT) | instid1(VALU_DEP_1)
	v_and_b32_e32 v64, 0xffff, v28
	v_mul_u32_u24_e32 v28, 6, v64
	s_delay_alu instid0(VALU_DEP_1)
	v_lshlrev_b32_e32 v48, 4, v28
	s_clause 0x5
	global_load_b128 v[28:31], v48, s[8:9] offset:832
	global_load_b128 v[32:35], v48, s[8:9] offset:880
	;; [unrolled: 1-line block ×6, first 2 shown]
	s_wait_loadcnt 0x5
	v_mul_f64_e32 v[52:53], v[0:1], v[30:31]
	s_wait_loadcnt 0x4
	v_mul_f64_e32 v[54:55], v[20:21], v[34:35]
	;; [unrolled: 2-line block ×4, first 2 shown]
	v_mul_f64_e32 v[30:31], v[2:3], v[30:31]
	v_mul_f64_e32 v[34:35], v[22:23], v[34:35]
	v_mul_f64_e32 v[38:39], v[10:11], v[38:39]
	v_mul_f64_e32 v[42:43], v[26:27], v[42:43]
	s_wait_loadcnt 0x1
	v_mul_f64_e32 v[60:61], v[18:19], v[46:47]
	s_wait_loadcnt 0x0
	v_mul_f64_e32 v[62:63], v[14:15], v[50:51]
	v_mul_f64_e32 v[50:51], v[12:13], v[50:51]
	;; [unrolled: 1-line block ×3, first 2 shown]
	v_fma_f64 v[2:3], v[2:3], v[28:29], -v[52:53]
	v_fma_f64 v[22:23], v[22:23], v[32:33], -v[54:55]
	;; [unrolled: 1-line block ×4, first 2 shown]
	v_fma_f64 v[0:1], v[0:1], v[28:29], v[30:31]
	v_fma_f64 v[20:21], v[20:21], v[32:33], v[34:35]
	;; [unrolled: 1-line block ×6, first 2 shown]
	v_fma_f64 v[14:15], v[14:15], v[48:49], -v[50:51]
	v_fma_f64 v[18:19], v[18:19], v[44:45], -v[46:47]
	v_add_f64_e32 v[28:29], v[2:3], v[22:23]
	v_add_f64_e64 v[2:3], v[2:3], -v[22:23]
	v_add_f64_e32 v[30:31], v[10:11], v[26:27]
	v_add_f64_e64 v[10:11], v[10:11], -v[26:27]
	;; [unrolled: 2-line block ×4, first 2 shown]
	v_add_f64_e64 v[36:37], v[16:17], -v[12:13]
	v_add_f64_e32 v[12:13], v[12:13], v[16:17]
	v_add_f64_e32 v[20:21], v[14:15], v[18:19]
	v_add_f64_e64 v[14:15], v[18:19], -v[14:15]
	v_add_f64_e32 v[16:17], v[28:29], v[30:31]
	v_add_f64_e64 v[42:43], v[2:3], -v[10:11]
	;; [unrolled: 2-line block ×3, first 2 shown]
	v_add_f64_e64 v[22:23], v[36:37], -v[0:1]
	v_add_f64_e64 v[26:27], v[34:35], -v[12:13]
	;; [unrolled: 1-line block ×4, first 2 shown]
	v_add_f64_e32 v[44:45], v[36:37], v[0:1]
	v_add_f64_e64 v[36:37], v[8:9], -v[36:37]
	v_add_f64_e32 v[46:47], v[14:15], v[2:3]
	v_add_f64_e64 v[14:15], v[10:11], -v[14:15]
	;; [unrolled: 2-line block ×4, first 2 shown]
	v_mul_f64_e32 v[22:23], s[16:17], v[22:23]
	v_mul_f64_e32 v[26:27], s[12:13], v[26:27]
	;; [unrolled: 1-line block ×4, first 2 shown]
	v_add_f64_e32 v[8:9], v[44:45], v[8:9]
	v_add_f64_e32 v[10:11], v[46:47], v[10:11]
	;; [unrolled: 1-line block ×3, first 2 shown]
	v_add_f64_e64 v[6:7], v[28:29], -v[30:31]
	v_mul_f64_e32 v[28:29], s[10:11], v[20:21]
	v_mul_f64_e32 v[30:31], s[16:17], v[40:41]
	v_add_f64_e32 v[0:1], v[4:5], v[18:19]
	v_mul_f64_e32 v[40:41], s[4:5], v[42:43]
	v_add_f64_e64 v[4:5], v[32:33], -v[34:35]
	v_mul_f64_e32 v[32:33], s[10:11], v[12:13]
	v_fma_f64 v[34:35], v[36:37], s[22:23], v[22:23]
	v_fma_f64 v[20:21], v[20:21], s[10:11], v[24:25]
	;; [unrolled: 1-line block ×3, first 2 shown]
	v_fma_f64 v[36:37], v[36:37], s[24:25], -v[48:49]
	v_fma_f64 v[22:23], v[38:39], s[4:5], -v[22:23]
	v_fma_f64 v[16:17], v[16:17], s[14:15], v[2:3]
	v_fma_f64 v[24:25], v[6:7], s[20:21], -v[24:25]
	v_fma_f64 v[6:7], v[6:7], s[18:19], -v[28:29]
	v_fma_f64 v[28:29], v[14:15], s[22:23], v[30:31]
	v_fma_f64 v[18:19], v[18:19], s[14:15], v[0:1]
	v_fma_f64 v[14:15], v[14:15], s[24:25], -v[40:41]
	v_fma_f64 v[26:27], v[4:5], s[20:21], -v[26:27]
	;; [unrolled: 1-line block ×4, first 2 shown]
	v_fma_f64 v[32:33], v[8:9], s[26:27], v[34:35]
	v_fma_f64 v[34:35], v[8:9], s[26:27], v[36:37]
	;; [unrolled: 1-line block ×3, first 2 shown]
	v_add_f64_e32 v[20:21], v[20:21], v[16:17]
	v_add_f64_e32 v[22:23], v[24:25], v[16:17]
	;; [unrolled: 1-line block ×3, first 2 shown]
	v_fma_f64 v[28:29], v[10:11], s[26:27], v[28:29]
	v_add_f64_e32 v[38:39], v[12:13], v[18:19]
	v_fma_f64 v[36:37], v[10:11], s[26:27], v[14:15]
	v_add_f64_e32 v[40:41], v[26:27], v[18:19]
	;; [unrolled: 2-line block ×3, first 2 shown]
	v_add_f64_e64 v[26:27], v[20:21], -v[32:33]
	v_add_f64_e32 v[6:7], v[32:33], v[20:21]
	v_add_f64_e32 v[10:11], v[34:35], v[22:23]
	v_add_f64_e64 v[22:23], v[22:23], -v[34:35]
	v_add_f64_e32 v[24:25], v[28:29], v[38:39]
	v_add_f64_e64 v[14:15], v[16:17], -v[8:9]
	v_add_f64_e32 v[20:21], v[36:37], v[40:41]
	v_add_f64_e32 v[18:19], v[8:9], v[16:17]
	v_add_f64_e64 v[16:17], v[4:5], -v[30:31]
	v_add_f64_e32 v[12:13], v[30:31], v[4:5]
	v_add_f64_e64 v[8:9], v[40:41], -v[36:37]
	v_add_f64_e64 v[4:5], v[38:39], -v[28:29]
	v_lshl_add_u32 v28, v64, 4, 0
	ds_store_b128 v28, v[0:3] offset:22848
	ds_store_b128 v28, v[24:27] offset:23936
	;; [unrolled: 1-line block ×7, first 2 shown]
.LBB0_19:
	s_wait_alu 0xfffe
	s_or_b32 exec_lo, exec_lo, s1
	v_mul_u32_u24_e32 v0, 3, v86
	global_wb scope:SCOPE_SE
	s_wait_dscnt 0x0
	s_barrier_signal -1
	s_barrier_wait -1
	global_inv scope:SCOPE_SE
	v_lshlrev_b32_e32 v44, 4, v0
	s_mov_b32 s1, exec_lo
	s_clause 0xb
	global_load_b128 v[0:3], v44, s[8:9] offset:7344
	global_load_b128 v[4:7], v44, s[8:9] offset:7360
	;; [unrolled: 1-line block ×12, first 2 shown]
	ds_load_b128 v[48:51], v174 offset:7616
	ds_load_b128 v[52:55], v174 offset:15232
	;; [unrolled: 1-line block ×12, first 2 shown]
	s_wait_loadcnt_dscnt 0xb0b
	v_mul_f64_e32 v[102:103], v[50:51], v[2:3]
	v_mul_f64_e32 v[2:3], v[48:49], v[2:3]
	s_wait_loadcnt_dscnt 0xa0a
	v_mul_f64_e32 v[104:105], v[54:55], v[6:7]
	v_mul_f64_e32 v[6:7], v[52:53], v[6:7]
	;; [unrolled: 3-line block ×12, first 2 shown]
	v_fma_f64 v[48:49], v[48:49], v[0:1], v[102:103]
	v_fma_f64 v[50:51], v[50:51], v[0:1], -v[2:3]
	v_fma_f64 v[52:53], v[52:53], v[4:5], v[104:105]
	v_fma_f64 v[54:55], v[54:55], v[4:5], -v[6:7]
	;; [unrolled: 2-line block ×12, first 2 shown]
	ds_load_b128 v[0:3], v174
	ds_load_b128 v[4:7], v174 offset:1904
	ds_load_b128 v[8:11], v174 offset:3808
	ds_load_b128 v[12:15], v174 offset:5712
	global_wb scope:SCOPE_SE
	s_wait_dscnt 0x0
	s_barrier_signal -1
	s_barrier_wait -1
	global_inv scope:SCOPE_SE
	v_add_f64_e64 v[46:47], v[0:1], -v[52:53]
	v_add_f64_e64 v[52:53], v[2:3], -v[54:55]
	v_add_f64_e64 v[54:55], v[48:49], -v[56:57]
	v_add_f64_e64 v[56:57], v[50:51], -v[58:59]
	v_add_f64_e64 v[58:59], v[4:5], -v[64:65]
	v_add_f64_e64 v[64:65], v[6:7], -v[16:17]
	v_add_f64_e64 v[16:17], v[60:61], -v[18:19]
	v_add_f64_e64 v[18:19], v[62:63], -v[20:21]
	v_add_f64_e64 v[66:67], v[8:9], -v[26:27]
	v_add_f64_e64 v[68:69], v[10:11], -v[28:29]
	v_add_f64_e64 v[20:21], v[22:23], -v[30:31]
	v_add_f64_e64 v[26:27], v[24:25], -v[32:33]
	v_add_f64_e64 v[70:71], v[12:13], -v[38:39]
	v_add_f64_e64 v[72:73], v[14:15], -v[40:41]
	v_add_f64_e64 v[28:29], v[34:35], -v[42:43]
	v_add_f64_e64 v[30:31], v[36:37], -v[44:45]
	v_fma_f64 v[74:75], v[0:1], 2.0, -v[46:47]
	v_fma_f64 v[76:77], v[2:3], 2.0, -v[52:53]
	;; [unrolled: 1-line block ×4, first 2 shown]
	v_add_f64_e32 v[0:1], v[46:47], v[56:57]
	v_fma_f64 v[78:79], v[4:5], 2.0, -v[58:59]
	v_fma_f64 v[80:81], v[6:7], 2.0, -v[64:65]
	v_fma_f64 v[40:41], v[60:61], 2.0, -v[16:17]
	v_fma_f64 v[42:43], v[62:63], 2.0, -v[18:19]
	v_add_f64_e64 v[2:3], v[52:53], -v[54:55]
	v_add_f64_e32 v[4:5], v[58:59], v[18:19]
	v_fma_f64 v[60:61], v[8:9], 2.0, -v[66:67]
	v_fma_f64 v[62:63], v[10:11], 2.0, -v[68:69]
	v_fma_f64 v[44:45], v[22:23], 2.0, -v[20:21]
	v_fma_f64 v[48:49], v[24:25], 2.0, -v[26:27]
	v_add_f64_e64 v[6:7], v[64:65], -v[16:17]
	;; [unrolled: 6-line block ×3, first 2 shown]
	v_add_f64_e32 v[12:13], v[70:71], v[30:31]
	v_add_f64_e64 v[14:15], v[72:73], -v[28:29]
	v_add_f64_e64 v[16:17], v[74:75], -v[32:33]
	;; [unrolled: 1-line block ×3, first 2 shown]
	v_fma_f64 v[32:33], v[46:47], 2.0, -v[0:1]
	v_add_f64_e64 v[20:21], v[78:79], -v[40:41]
	v_add_f64_e64 v[22:23], v[80:81], -v[42:43]
	;; [unrolled: 1-line block ×4, first 2 shown]
	v_fma_f64 v[38:39], v[64:65], 2.0, -v[6:7]
	v_fma_f64 v[40:41], v[66:67], 2.0, -v[8:9]
	v_add_f64_e64 v[28:29], v[82:83], -v[34:35]
	v_add_f64_e64 v[30:31], v[90:91], -v[36:37]
	v_fma_f64 v[34:35], v[52:53], 2.0, -v[2:3]
	v_fma_f64 v[36:37], v[58:59], 2.0, -v[4:5]
	;; [unrolled: 1-line block ×13, first 2 shown]
	ds_store_b128 v174, v[0:3] offset:22848
	ds_store_b128 v174, v[4:7] offset:24752
	;; [unrolled: 1-line block ×12, first 2 shown]
	ds_store_b128 v174, v[48:51]
	ds_store_b128 v174, v[52:55] offset:1904
	ds_store_b128 v174, v[56:59] offset:3808
	;; [unrolled: 1-line block ×3, first 2 shown]
	global_wb scope:SCOPE_SE
	s_wait_dscnt 0x0
	s_barrier_signal -1
	s_barrier_wait -1
	global_inv scope:SCOPE_SE
	ds_load_b128 v[4:7], v174
	v_lshlrev_b32_e32 v0, 4, v86
                                        ; implicit-def: $vgpr8_vgpr9
                                        ; implicit-def: $vgpr10_vgpr11
                                        ; implicit-def: $vgpr12_vgpr13
	s_delay_alu instid0(VALU_DEP_1)
	v_sub_nc_u32_e32 v14, 0, v0
                                        ; implicit-def: $vgpr0_vgpr1
	v_cmpx_ne_u32_e32 0, v86
	s_wait_alu 0xfffe
	s_xor_b32 s1, exec_lo, s1
	s_cbranch_execz .LBB0_21
; %bb.20:
	v_mov_b32_e32 v87, 0
	s_delay_alu instid0(VALU_DEP_1) | instskip(NEXT) | instid1(VALU_DEP_1)
	v_lshlrev_b64_e32 v[0:1], 4, v[86:87]
	v_add_co_u32 v0, s0, s8, v0
	s_wait_alu 0xf1ff
	s_delay_alu instid0(VALU_DEP_2)
	v_add_co_ci_u32_e64 v1, s0, s9, v1, s0
	global_load_b128 v[15:18], v[0:1], off offset:30192
	ds_load_b128 v[0:3], v14 offset:30464
	s_wait_dscnt 0x0
	v_add_f64_e64 v[8:9], v[4:5], -v[0:1]
	v_add_f64_e32 v[10:11], v[6:7], v[2:3]
	v_add_f64_e64 v[2:3], v[6:7], -v[2:3]
	v_add_f64_e32 v[0:1], v[4:5], v[0:1]
	s_delay_alu instid0(VALU_DEP_4) | instskip(NEXT) | instid1(VALU_DEP_4)
	v_mul_f64_e32 v[6:7], 0.5, v[8:9]
	v_mul_f64_e32 v[4:5], 0.5, v[10:11]
	s_delay_alu instid0(VALU_DEP_4) | instskip(SKIP_1) | instid1(VALU_DEP_3)
	v_mul_f64_e32 v[2:3], 0.5, v[2:3]
	s_wait_loadcnt 0x0
	v_mul_f64_e32 v[8:9], v[6:7], v[17:18]
	s_delay_alu instid0(VALU_DEP_2) | instskip(SKIP_1) | instid1(VALU_DEP_3)
	v_fma_f64 v[10:11], v[4:5], v[17:18], v[2:3]
	v_fma_f64 v[2:3], v[4:5], v[17:18], -v[2:3]
	v_fma_f64 v[12:13], v[0:1], 0.5, v[8:9]
	v_fma_f64 v[0:1], v[0:1], 0.5, -v[8:9]
	s_delay_alu instid0(VALU_DEP_4) | instskip(NEXT) | instid1(VALU_DEP_4)
	v_fma_f64 v[10:11], -v[15:16], v[6:7], v[10:11]
	v_fma_f64 v[2:3], -v[15:16], v[6:7], v[2:3]
	s_delay_alu instid0(VALU_DEP_4) | instskip(NEXT) | instid1(VALU_DEP_4)
	v_fma_f64 v[8:9], v[4:5], v[15:16], v[12:13]
	v_fma_f64 v[0:1], -v[4:5], v[15:16], v[0:1]
	v_dual_mov_b32 v12, v86 :: v_dual_mov_b32 v13, v87
                                        ; implicit-def: $vgpr4_vgpr5
.LBB0_21:
	s_wait_alu 0xfffe
	s_and_not1_saveexec_b32 s0, s1
	s_cbranch_execz .LBB0_23
; %bb.22:
	s_wait_dscnt 0x0
	v_add_f64_e32 v[8:9], v[4:5], v[6:7]
	v_add_f64_e64 v[0:1], v[4:5], -v[6:7]
	v_mov_b32_e32 v6, 0
	v_mov_b32_e32 v10, 0
	v_dual_mov_b32 v11, 0 :: v_dual_mov_b32 v12, 0
	s_delay_alu instid0(VALU_DEP_2)
	v_mov_b32_e32 v2, v10
	ds_load_b64 v[4:5], v6 offset:15240
	v_mov_b32_e32 v13, 0
	v_mov_b32_e32 v3, v11
	s_wait_dscnt 0x0
	v_xor_b32_e32 v5, 0x80000000, v5
	ds_store_b64 v6, v[4:5] offset:15240
.LBB0_23:
	s_wait_alu 0xfffe
	s_or_b32 exec_lo, exec_lo, s0
	s_wait_dscnt 0x0
	v_lshlrev_b64_e32 v[4:5], 4, v[12:13]
	s_add_nc_u64 s[0:1], s[8:9], 0x75f0
	s_wait_alu 0xfffe
	s_delay_alu instid0(VALU_DEP_1) | instskip(SKIP_1) | instid1(VALU_DEP_2)
	v_add_co_u32 v12, s0, s0, v4
	s_wait_alu 0xf1ff
	v_add_co_ci_u32_e64 v13, s0, s1, v5, s0
	s_clause 0x1
	global_load_b128 v[4:7], v[12:13], off offset:1904
	global_load_b128 v[15:18], v[12:13], off offset:3808
	ds_store_2addr_b64 v174, v[8:9], v[10:11] offset1:1
	ds_store_b128 v14, v[0:3] offset:30464
	ds_load_b128 v[0:3], v174 offset:1904
	ds_load_b128 v[8:11], v14 offset:28560
	s_wait_dscnt 0x0
	v_add_f64_e64 v[19:20], v[0:1], -v[8:9]
	v_add_f64_e32 v[21:22], v[2:3], v[10:11]
	v_add_f64_e64 v[2:3], v[2:3], -v[10:11]
	v_add_f64_e32 v[0:1], v[0:1], v[8:9]
	s_delay_alu instid0(VALU_DEP_4) | instskip(NEXT) | instid1(VALU_DEP_4)
	v_mul_f64_e32 v[10:11], 0.5, v[19:20]
	v_mul_f64_e32 v[19:20], 0.5, v[21:22]
	s_delay_alu instid0(VALU_DEP_4) | instskip(SKIP_1) | instid1(VALU_DEP_3)
	v_mul_f64_e32 v[2:3], 0.5, v[2:3]
	s_wait_loadcnt 0x1
	v_mul_f64_e32 v[8:9], v[10:11], v[6:7]
	s_delay_alu instid0(VALU_DEP_2) | instskip(SKIP_1) | instid1(VALU_DEP_3)
	v_fma_f64 v[21:22], v[19:20], v[6:7], v[2:3]
	v_fma_f64 v[2:3], v[19:20], v[6:7], -v[2:3]
	v_fma_f64 v[6:7], v[0:1], 0.5, v[8:9]
	v_fma_f64 v[0:1], v[0:1], 0.5, -v[8:9]
	s_delay_alu instid0(VALU_DEP_4) | instskip(NEXT) | instid1(VALU_DEP_4)
	v_fma_f64 v[8:9], -v[4:5], v[10:11], v[21:22]
	v_fma_f64 v[2:3], -v[4:5], v[10:11], v[2:3]
	s_delay_alu instid0(VALU_DEP_4) | instskip(NEXT) | instid1(VALU_DEP_4)
	v_fma_f64 v[10:11], v[19:20], v[4:5], v[6:7]
	v_fma_f64 v[0:1], -v[19:20], v[4:5], v[0:1]
	global_load_b128 v[4:7], v[12:13], off offset:5712
	ds_store_2addr_b64 v174, v[10:11], v[8:9] offset0:238 offset1:239
	ds_store_b128 v14, v[0:3] offset:28560
	ds_load_b128 v[0:3], v174 offset:3808
	ds_load_b128 v[8:11], v14 offset:26656
	s_wait_dscnt 0x0
	v_add_f64_e64 v[19:20], v[0:1], -v[8:9]
	v_add_f64_e32 v[21:22], v[2:3], v[10:11]
	v_add_f64_e64 v[2:3], v[2:3], -v[10:11]
	v_add_f64_e32 v[0:1], v[0:1], v[8:9]
	s_delay_alu instid0(VALU_DEP_4) | instskip(NEXT) | instid1(VALU_DEP_4)
	v_mul_f64_e32 v[10:11], 0.5, v[19:20]
	v_mul_f64_e32 v[19:20], 0.5, v[21:22]
	s_delay_alu instid0(VALU_DEP_4) | instskip(SKIP_1) | instid1(VALU_DEP_3)
	v_mul_f64_e32 v[2:3], 0.5, v[2:3]
	s_wait_loadcnt 0x1
	v_mul_f64_e32 v[8:9], v[10:11], v[17:18]
	s_delay_alu instid0(VALU_DEP_2) | instskip(SKIP_1) | instid1(VALU_DEP_3)
	v_fma_f64 v[21:22], v[19:20], v[17:18], v[2:3]
	v_fma_f64 v[2:3], v[19:20], v[17:18], -v[2:3]
	v_fma_f64 v[17:18], v[0:1], 0.5, v[8:9]
	v_fma_f64 v[0:1], v[0:1], 0.5, -v[8:9]
	s_delay_alu instid0(VALU_DEP_4) | instskip(NEXT) | instid1(VALU_DEP_4)
	v_fma_f64 v[21:22], -v[15:16], v[10:11], v[21:22]
	v_fma_f64 v[2:3], -v[15:16], v[10:11], v[2:3]
	global_load_b128 v[8:11], v[12:13], off offset:7616
	v_fma_f64 v[17:18], v[19:20], v[15:16], v[17:18]
	v_fma_f64 v[0:1], -v[19:20], v[15:16], v[0:1]
	v_add_nc_u32_e32 v15, 0x800, v174
	ds_store_2addr_b64 v15, v[17:18], v[21:22] offset0:220 offset1:221
	ds_store_b128 v14, v[0:3] offset:26656
	ds_load_b128 v[0:3], v174 offset:5712
	ds_load_b128 v[15:18], v14 offset:24752
	s_wait_dscnt 0x0
	v_add_f64_e64 v[19:20], v[0:1], -v[15:16]
	v_add_f64_e32 v[21:22], v[2:3], v[17:18]
	v_add_f64_e64 v[2:3], v[2:3], -v[17:18]
	v_add_f64_e32 v[0:1], v[0:1], v[15:16]
	s_delay_alu instid0(VALU_DEP_4) | instskip(NEXT) | instid1(VALU_DEP_4)
	v_mul_f64_e32 v[17:18], 0.5, v[19:20]
	v_mul_f64_e32 v[19:20], 0.5, v[21:22]
	s_delay_alu instid0(VALU_DEP_4) | instskip(SKIP_1) | instid1(VALU_DEP_3)
	v_mul_f64_e32 v[2:3], 0.5, v[2:3]
	s_wait_loadcnt 0x1
	v_mul_f64_e32 v[15:16], v[17:18], v[6:7]
	s_delay_alu instid0(VALU_DEP_2) | instskip(SKIP_1) | instid1(VALU_DEP_3)
	v_fma_f64 v[21:22], v[19:20], v[6:7], v[2:3]
	v_fma_f64 v[2:3], v[19:20], v[6:7], -v[2:3]
	v_fma_f64 v[6:7], v[0:1], 0.5, v[15:16]
	v_fma_f64 v[0:1], v[0:1], 0.5, -v[15:16]
	s_delay_alu instid0(VALU_DEP_4) | instskip(NEXT) | instid1(VALU_DEP_4)
	v_fma_f64 v[15:16], -v[4:5], v[17:18], v[21:22]
	v_fma_f64 v[2:3], -v[4:5], v[17:18], v[2:3]
	s_delay_alu instid0(VALU_DEP_4) | instskip(NEXT) | instid1(VALU_DEP_4)
	v_fma_f64 v[17:18], v[19:20], v[4:5], v[6:7]
	v_fma_f64 v[0:1], -v[19:20], v[4:5], v[0:1]
	global_load_b128 v[4:7], v[12:13], off offset:9520
	v_add_nc_u32_e32 v19, 0x1000, v174
	ds_store_2addr_b64 v19, v[17:18], v[15:16] offset0:202 offset1:203
	ds_store_b128 v14, v[0:3] offset:24752
	ds_load_b128 v[0:3], v174 offset:7616
	ds_load_b128 v[15:18], v14 offset:22848
	s_wait_dscnt 0x0
	v_add_f64_e64 v[19:20], v[0:1], -v[15:16]
	v_add_f64_e32 v[21:22], v[2:3], v[17:18]
	v_add_f64_e64 v[2:3], v[2:3], -v[17:18]
	v_add_f64_e32 v[0:1], v[0:1], v[15:16]
	s_delay_alu instid0(VALU_DEP_4) | instskip(NEXT) | instid1(VALU_DEP_4)
	v_mul_f64_e32 v[17:18], 0.5, v[19:20]
	v_mul_f64_e32 v[19:20], 0.5, v[21:22]
	s_delay_alu instid0(VALU_DEP_4) | instskip(SKIP_1) | instid1(VALU_DEP_3)
	v_mul_f64_e32 v[2:3], 0.5, v[2:3]
	s_wait_loadcnt 0x1
	v_mul_f64_e32 v[15:16], v[17:18], v[10:11]
	s_delay_alu instid0(VALU_DEP_2) | instskip(SKIP_1) | instid1(VALU_DEP_3)
	v_fma_f64 v[21:22], v[19:20], v[10:11], v[2:3]
	v_fma_f64 v[2:3], v[19:20], v[10:11], -v[2:3]
	v_fma_f64 v[10:11], v[0:1], 0.5, v[15:16]
	v_fma_f64 v[0:1], v[0:1], 0.5, -v[15:16]
	s_delay_alu instid0(VALU_DEP_4) | instskip(NEXT) | instid1(VALU_DEP_4)
	v_fma_f64 v[15:16], -v[8:9], v[17:18], v[21:22]
	v_fma_f64 v[2:3], -v[8:9], v[17:18], v[2:3]
	s_delay_alu instid0(VALU_DEP_4) | instskip(NEXT) | instid1(VALU_DEP_4)
	v_fma_f64 v[17:18], v[19:20], v[8:9], v[10:11]
	v_fma_f64 v[0:1], -v[19:20], v[8:9], v[0:1]
	global_load_b128 v[8:11], v[12:13], off offset:11424
	;; [unrolled: 29-line block ×3, first 2 shown]
	v_add_nc_u32_e32 v12, 0x2000, v174
	ds_store_2addr_b64 v12, v[17:18], v[15:16] offset0:166 offset1:167
	ds_store_b128 v14, v[0:3] offset:20944
	ds_load_b128 v[0:3], v174 offset:11424
	ds_load_b128 v[15:18], v14 offset:19040
	s_wait_dscnt 0x0
	v_add_f64_e64 v[12:13], v[0:1], -v[15:16]
	v_add_f64_e32 v[19:20], v[2:3], v[17:18]
	v_add_f64_e64 v[2:3], v[2:3], -v[17:18]
	v_add_f64_e32 v[0:1], v[0:1], v[15:16]
	s_delay_alu instid0(VALU_DEP_4) | instskip(NEXT) | instid1(VALU_DEP_4)
	v_mul_f64_e32 v[12:13], 0.5, v[12:13]
	v_mul_f64_e32 v[17:18], 0.5, v[19:20]
	s_delay_alu instid0(VALU_DEP_4) | instskip(SKIP_1) | instid1(VALU_DEP_3)
	v_mul_f64_e32 v[2:3], 0.5, v[2:3]
	s_wait_loadcnt 0x1
	v_mul_f64_e32 v[15:16], v[12:13], v[10:11]
	s_delay_alu instid0(VALU_DEP_2) | instskip(SKIP_1) | instid1(VALU_DEP_3)
	v_fma_f64 v[19:20], v[17:18], v[10:11], v[2:3]
	v_fma_f64 v[2:3], v[17:18], v[10:11], -v[2:3]
	v_fma_f64 v[10:11], v[0:1], 0.5, v[15:16]
	v_fma_f64 v[0:1], v[0:1], 0.5, -v[15:16]
	s_delay_alu instid0(VALU_DEP_4) | instskip(NEXT) | instid1(VALU_DEP_4)
	v_fma_f64 v[15:16], -v[8:9], v[12:13], v[19:20]
	v_fma_f64 v[2:3], -v[8:9], v[12:13], v[2:3]
	s_delay_alu instid0(VALU_DEP_4) | instskip(NEXT) | instid1(VALU_DEP_4)
	v_fma_f64 v[10:11], v[17:18], v[8:9], v[10:11]
	v_fma_f64 v[0:1], -v[17:18], v[8:9], v[0:1]
	v_add_nc_u32_e32 v8, 0x2800, v174
	ds_store_2addr_b64 v8, v[10:11], v[15:16] offset0:148 offset1:149
	ds_store_b128 v14, v[0:3] offset:19040
	ds_load_b128 v[0:3], v174 offset:13328
	ds_load_b128 v[8:11], v14 offset:17136
	s_wait_dscnt 0x0
	v_add_f64_e64 v[12:13], v[0:1], -v[8:9]
	v_add_f64_e32 v[15:16], v[2:3], v[10:11]
	v_add_f64_e64 v[2:3], v[2:3], -v[10:11]
	v_add_f64_e32 v[0:1], v[0:1], v[8:9]
	s_delay_alu instid0(VALU_DEP_4) | instskip(NEXT) | instid1(VALU_DEP_4)
	v_mul_f64_e32 v[10:11], 0.5, v[12:13]
	v_mul_f64_e32 v[12:13], 0.5, v[15:16]
	s_delay_alu instid0(VALU_DEP_4) | instskip(SKIP_1) | instid1(VALU_DEP_3)
	v_mul_f64_e32 v[2:3], 0.5, v[2:3]
	s_wait_loadcnt 0x0
	v_mul_f64_e32 v[8:9], v[10:11], v[6:7]
	s_delay_alu instid0(VALU_DEP_2) | instskip(SKIP_1) | instid1(VALU_DEP_3)
	v_fma_f64 v[15:16], v[12:13], v[6:7], v[2:3]
	v_fma_f64 v[2:3], v[12:13], v[6:7], -v[2:3]
	v_fma_f64 v[6:7], v[0:1], 0.5, v[8:9]
	v_fma_f64 v[0:1], v[0:1], 0.5, -v[8:9]
	s_delay_alu instid0(VALU_DEP_4) | instskip(NEXT) | instid1(VALU_DEP_4)
	v_fma_f64 v[8:9], -v[4:5], v[10:11], v[15:16]
	v_fma_f64 v[2:3], -v[4:5], v[10:11], v[2:3]
	s_delay_alu instid0(VALU_DEP_4) | instskip(NEXT) | instid1(VALU_DEP_4)
	v_fma_f64 v[6:7], v[12:13], v[4:5], v[6:7]
	v_fma_f64 v[0:1], -v[12:13], v[4:5], v[0:1]
	v_add_nc_u32_e32 v4, 0x3000, v174
	ds_store_2addr_b64 v4, v[6:7], v[8:9] offset0:130 offset1:131
	ds_store_b128 v14, v[0:3] offset:17136
	global_wb scope:SCOPE_SE
	s_wait_dscnt 0x0
	s_barrier_signal -1
	s_barrier_wait -1
	global_inv scope:SCOPE_SE
	s_and_saveexec_b32 s0, vcc_lo
	s_cbranch_execz .LBB0_26
; %bb.24:
	v_mul_lo_u32 v2, s3, v88
	v_mul_lo_u32 v3, s2, v89
	v_mad_co_u64_u32 v[0:1], null, s2, v88, 0
	v_dual_mov_b32 v87, 0 :: v_dual_add_nc_u32 v12, 0x77, v86
	v_lshlrev_b64_e32 v[10:11], 4, v[84:85]
	v_lshl_add_u32 v28, v86, 4, 0
	s_delay_alu instid0(VALU_DEP_3)
	v_dual_mov_b32 v13, v87 :: v_dual_add_nc_u32 v14, 0xee, v86
	v_add3_u32 v1, v1, v3, v2
	v_lshlrev_b64_e32 v[16:17], 4, v[86:87]
	v_dual_mov_b32 v15, v87 :: v_dual_add_nc_u32 v24, 0x165, v86
	ds_load_b128 v[2:5], v28
	ds_load_b128 v[6:9], v28 offset:1904
	v_lshlrev_b64_e32 v[0:1], 4, v[0:1]
	v_lshlrev_b64_e32 v[18:19], 4, v[12:13]
	;; [unrolled: 1-line block ×3, first 2 shown]
	v_dual_mov_b32 v25, v87 :: v_dual_add_nc_u32 v26, 0x1dc, v86
	v_mov_b32_e32 v27, v87
	v_add_co_u32 v0, vcc_lo, s6, v0
	s_wait_alu 0xfffd
	v_add_co_ci_u32_e32 v1, vcc_lo, s7, v1, vcc_lo
	v_lshlrev_b64_e32 v[24:25], 4, v[24:25]
	s_delay_alu instid0(VALU_DEP_3) | instskip(SKIP_1) | instid1(VALU_DEP_3)
	v_add_co_u32 v0, vcc_lo, v0, v10
	s_wait_alu 0xfffd
	v_add_co_ci_u32_e32 v1, vcc_lo, v1, v11, vcc_lo
	s_delay_alu instid0(VALU_DEP_2) | instskip(SKIP_1) | instid1(VALU_DEP_2)
	v_add_co_u32 v22, vcc_lo, v0, v16
	s_wait_alu 0xfffd
	v_add_co_ci_u32_e32 v23, vcc_lo, v1, v17, vcc_lo
	ds_load_b128 v[10:13], v28 offset:3808
	ds_load_b128 v[14:17], v28 offset:5712
	v_add_co_u32 v18, vcc_lo, v0, v18
	s_wait_alu 0xfffd
	v_add_co_ci_u32_e32 v19, vcc_lo, v1, v19, vcc_lo
	v_add_co_u32 v20, vcc_lo, v0, v20
	s_wait_alu 0xfffd
	v_add_co_ci_u32_e32 v21, vcc_lo, v1, v21, vcc_lo
	;; [unrolled: 3-line block ×3, first 2 shown]
	s_wait_dscnt 0x3
	global_store_b128 v[22:23], v[2:5], off
	s_wait_dscnt 0x2
	global_store_b128 v[18:19], v[6:9], off
	;; [unrolled: 2-line block ×4, first 2 shown]
	v_add_nc_u32_e32 v10, 0x253, v86
	v_lshlrev_b64_e32 v[2:3], 4, v[26:27]
	v_dual_mov_b32 v11, v87 :: v_dual_add_nc_u32 v12, 0x2ca, v86
	v_dual_mov_b32 v13, v87 :: v_dual_add_nc_u32 v24, 0x341, v86
	v_dual_mov_b32 v25, v87 :: v_dual_add_nc_u32 v26, 0x3b8, v86
	s_delay_alu instid0(VALU_DEP_4)
	v_add_co_u32 v18, vcc_lo, v0, v2
	s_wait_alu 0xfffd
	v_add_co_ci_u32_e32 v19, vcc_lo, v1, v3, vcc_lo
	ds_load_b128 v[2:5], v28 offset:7616
	ds_load_b128 v[6:9], v28 offset:9520
	v_lshlrev_b64_e32 v[20:21], 4, v[10:11]
	v_lshlrev_b64_e32 v[22:23], 4, v[12:13]
	ds_load_b128 v[10:13], v28 offset:11424
	ds_load_b128 v[14:17], v28 offset:13328
	v_lshlrev_b64_e32 v[24:25], 4, v[24:25]
	v_add_co_u32 v20, vcc_lo, v0, v20
	s_wait_alu 0xfffd
	v_add_co_ci_u32_e32 v21, vcc_lo, v1, v21, vcc_lo
	v_add_co_u32 v22, vcc_lo, v0, v22
	s_wait_alu 0xfffd
	v_add_co_ci_u32_e32 v23, vcc_lo, v1, v23, vcc_lo
	;; [unrolled: 3-line block ×3, first 2 shown]
	s_wait_dscnt 0x3
	global_store_b128 v[18:19], v[2:5], off
	s_wait_dscnt 0x2
	global_store_b128 v[20:21], v[6:9], off
	;; [unrolled: 2-line block ×4, first 2 shown]
	v_lshlrev_b64_e32 v[2:3], 4, v[26:27]
	v_dual_mov_b32 v11, v87 :: v_dual_add_nc_u32 v10, 0x42f, v86
	v_dual_mov_b32 v13, v87 :: v_dual_add_nc_u32 v12, 0x4a6, v86
	;; [unrolled: 1-line block ×3, first 2 shown]
	s_delay_alu instid0(VALU_DEP_4)
	v_add_co_u32 v18, vcc_lo, v0, v2
	s_wait_alu 0xfffd
	v_add_co_ci_u32_e32 v19, vcc_lo, v1, v3, vcc_lo
	ds_load_b128 v[2:5], v28 offset:15232
	ds_load_b128 v[6:9], v28 offset:17136
	v_lshlrev_b64_e32 v[20:21], 4, v[10:11]
	v_lshlrev_b64_e32 v[22:23], 4, v[12:13]
	ds_load_b128 v[10:13], v28 offset:19040
	ds_load_b128 v[14:17], v28 offset:20944
	v_lshlrev_b64_e32 v[24:25], 4, v[24:25]
	v_add_nc_u32_e32 v26, 0x594, v86
	v_add_co_u32 v20, vcc_lo, v0, v20
	s_wait_alu 0xfffd
	v_add_co_ci_u32_e32 v21, vcc_lo, v1, v21, vcc_lo
	v_add_co_u32 v22, vcc_lo, v0, v22
	s_wait_alu 0xfffd
	v_add_co_ci_u32_e32 v23, vcc_lo, v1, v23, vcc_lo
	;; [unrolled: 3-line block ×3, first 2 shown]
	s_wait_dscnt 0x3
	global_store_b128 v[18:19], v[2:5], off
	s_wait_dscnt 0x2
	global_store_b128 v[20:21], v[6:9], off
	;; [unrolled: 2-line block ×4, first 2 shown]
	v_mov_b32_e32 v11, v87
	v_lshlrev_b64_e32 v[2:3], 4, v[26:27]
	v_dual_mov_b32 v13, v87 :: v_dual_add_nc_u32 v10, 0x60b, v86
	v_dual_mov_b32 v25, v87 :: v_dual_add_nc_u32 v12, 0x682, v86
	v_add_nc_u32_e32 v24, 0x6f9, v86
	s_delay_alu instid0(VALU_DEP_4)
	v_add_co_u32 v18, vcc_lo, v0, v2
	s_wait_alu 0xfffd
	v_add_co_ci_u32_e32 v19, vcc_lo, v1, v3, vcc_lo
	ds_load_b128 v[2:5], v28 offset:22848
	ds_load_b128 v[6:9], v28 offset:24752
	v_lshlrev_b64_e32 v[20:21], 4, v[10:11]
	v_lshlrev_b64_e32 v[22:23], 4, v[12:13]
	ds_load_b128 v[10:13], v28 offset:26656
	ds_load_b128 v[14:17], v28 offset:28560
	v_lshlrev_b64_e32 v[24:25], 4, v[24:25]
	v_add_co_u32 v20, vcc_lo, v0, v20
	s_wait_alu 0xfffd
	v_add_co_ci_u32_e32 v21, vcc_lo, v1, v21, vcc_lo
	v_add_co_u32 v22, vcc_lo, v0, v22
	s_wait_alu 0xfffd
	v_add_co_ci_u32_e32 v23, vcc_lo, v1, v23, vcc_lo
	;; [unrolled: 3-line block ×3, first 2 shown]
	v_cmp_eq_u32_e32 vcc_lo, 0x76, v86
	s_wait_dscnt 0x3
	global_store_b128 v[18:19], v[2:5], off
	s_wait_dscnt 0x2
	global_store_b128 v[20:21], v[6:9], off
	;; [unrolled: 2-line block ×4, first 2 shown]
	s_and_b32 exec_lo, exec_lo, vcc_lo
	s_cbranch_execz .LBB0_26
; %bb.25:
	ds_load_b128 v[2:5], v87 offset:30464
	s_wait_dscnt 0x0
	global_store_b128 v[0:1], v[2:5], off offset:30464
.LBB0_26:
	s_nop 0
	s_sendmsg sendmsg(MSG_DEALLOC_VGPRS)
	s_endpgm
	.section	.rodata,"a",@progbits
	.p2align	6, 0x0
	.amdhsa_kernel fft_rtc_back_len1904_factors_17_2_2_7_4_wgs_119_tpt_119_halfLds_dp_op_CI_CI_unitstride_sbrr_R2C_dirReg
		.amdhsa_group_segment_fixed_size 0
		.amdhsa_private_segment_fixed_size 0
		.amdhsa_kernarg_size 104
		.amdhsa_user_sgpr_count 2
		.amdhsa_user_sgpr_dispatch_ptr 0
		.amdhsa_user_sgpr_queue_ptr 0
		.amdhsa_user_sgpr_kernarg_segment_ptr 1
		.amdhsa_user_sgpr_dispatch_id 0
		.amdhsa_user_sgpr_private_segment_size 0
		.amdhsa_wavefront_size32 1
		.amdhsa_uses_dynamic_stack 0
		.amdhsa_enable_private_segment 0
		.amdhsa_system_sgpr_workgroup_id_x 1
		.amdhsa_system_sgpr_workgroup_id_y 0
		.amdhsa_system_sgpr_workgroup_id_z 0
		.amdhsa_system_sgpr_workgroup_info 0
		.amdhsa_system_vgpr_workitem_id 0
		.amdhsa_next_free_vgpr 251
		.amdhsa_next_free_sgpr 54
		.amdhsa_reserve_vcc 1
		.amdhsa_float_round_mode_32 0
		.amdhsa_float_round_mode_16_64 0
		.amdhsa_float_denorm_mode_32 3
		.amdhsa_float_denorm_mode_16_64 3
		.amdhsa_fp16_overflow 0
		.amdhsa_workgroup_processor_mode 1
		.amdhsa_memory_ordered 1
		.amdhsa_forward_progress 0
		.amdhsa_round_robin_scheduling 0
		.amdhsa_exception_fp_ieee_invalid_op 0
		.amdhsa_exception_fp_denorm_src 0
		.amdhsa_exception_fp_ieee_div_zero 0
		.amdhsa_exception_fp_ieee_overflow 0
		.amdhsa_exception_fp_ieee_underflow 0
		.amdhsa_exception_fp_ieee_inexact 0
		.amdhsa_exception_int_div_zero 0
	.end_amdhsa_kernel
	.text
.Lfunc_end0:
	.size	fft_rtc_back_len1904_factors_17_2_2_7_4_wgs_119_tpt_119_halfLds_dp_op_CI_CI_unitstride_sbrr_R2C_dirReg, .Lfunc_end0-fft_rtc_back_len1904_factors_17_2_2_7_4_wgs_119_tpt_119_halfLds_dp_op_CI_CI_unitstride_sbrr_R2C_dirReg
                                        ; -- End function
	.section	.AMDGPU.csdata,"",@progbits
; Kernel info:
; codeLenInByte = 16984
; NumSgprs: 56
; NumVgprs: 251
; ScratchSize: 0
; MemoryBound: 0
; FloatMode: 240
; IeeeMode: 1
; LDSByteSize: 0 bytes/workgroup (compile time only)
; SGPRBlocks: 6
; VGPRBlocks: 31
; NumSGPRsForWavesPerEU: 56
; NumVGPRsForWavesPerEU: 251
; Occupancy: 5
; WaveLimiterHint : 1
; COMPUTE_PGM_RSRC2:SCRATCH_EN: 0
; COMPUTE_PGM_RSRC2:USER_SGPR: 2
; COMPUTE_PGM_RSRC2:TRAP_HANDLER: 0
; COMPUTE_PGM_RSRC2:TGID_X_EN: 1
; COMPUTE_PGM_RSRC2:TGID_Y_EN: 0
; COMPUTE_PGM_RSRC2:TGID_Z_EN: 0
; COMPUTE_PGM_RSRC2:TIDIG_COMP_CNT: 0
	.text
	.p2alignl 7, 3214868480
	.fill 96, 4, 3214868480
	.type	__hip_cuid_4e2ddc59d37a6237,@object ; @__hip_cuid_4e2ddc59d37a6237
	.section	.bss,"aw",@nobits
	.globl	__hip_cuid_4e2ddc59d37a6237
__hip_cuid_4e2ddc59d37a6237:
	.byte	0                               ; 0x0
	.size	__hip_cuid_4e2ddc59d37a6237, 1

	.ident	"AMD clang version 19.0.0git (https://github.com/RadeonOpenCompute/llvm-project roc-6.4.0 25133 c7fe45cf4b819c5991fe208aaa96edf142730f1d)"
	.section	".note.GNU-stack","",@progbits
	.addrsig
	.addrsig_sym __hip_cuid_4e2ddc59d37a6237
	.amdgpu_metadata
---
amdhsa.kernels:
  - .args:
      - .actual_access:  read_only
        .address_space:  global
        .offset:         0
        .size:           8
        .value_kind:     global_buffer
      - .offset:         8
        .size:           8
        .value_kind:     by_value
      - .actual_access:  read_only
        .address_space:  global
        .offset:         16
        .size:           8
        .value_kind:     global_buffer
      - .actual_access:  read_only
        .address_space:  global
        .offset:         24
        .size:           8
        .value_kind:     global_buffer
      - .actual_access:  read_only
        .address_space:  global
        .offset:         32
        .size:           8
        .value_kind:     global_buffer
      - .offset:         40
        .size:           8
        .value_kind:     by_value
      - .actual_access:  read_only
        .address_space:  global
        .offset:         48
        .size:           8
        .value_kind:     global_buffer
      - .actual_access:  read_only
        .address_space:  global
        .offset:         56
        .size:           8
        .value_kind:     global_buffer
      - .offset:         64
        .size:           4
        .value_kind:     by_value
      - .actual_access:  read_only
        .address_space:  global
        .offset:         72
        .size:           8
        .value_kind:     global_buffer
      - .actual_access:  read_only
        .address_space:  global
        .offset:         80
        .size:           8
        .value_kind:     global_buffer
      - .actual_access:  read_only
        .address_space:  global
        .offset:         88
        .size:           8
        .value_kind:     global_buffer
      - .actual_access:  write_only
        .address_space:  global
        .offset:         96
        .size:           8
        .value_kind:     global_buffer
    .group_segment_fixed_size: 0
    .kernarg_segment_align: 8
    .kernarg_segment_size: 104
    .language:       OpenCL C
    .language_version:
      - 2
      - 0
    .max_flat_workgroup_size: 119
    .name:           fft_rtc_back_len1904_factors_17_2_2_7_4_wgs_119_tpt_119_halfLds_dp_op_CI_CI_unitstride_sbrr_R2C_dirReg
    .private_segment_fixed_size: 0
    .sgpr_count:     56
    .sgpr_spill_count: 0
    .symbol:         fft_rtc_back_len1904_factors_17_2_2_7_4_wgs_119_tpt_119_halfLds_dp_op_CI_CI_unitstride_sbrr_R2C_dirReg.kd
    .uniform_work_group_size: 1
    .uses_dynamic_stack: false
    .vgpr_count:     251
    .vgpr_spill_count: 0
    .wavefront_size: 32
    .workgroup_processor_mode: 1
amdhsa.target:   amdgcn-amd-amdhsa--gfx1201
amdhsa.version:
  - 1
  - 2
...

	.end_amdgpu_metadata
